;; amdgpu-corpus repo=ROCm/rocSOLVER kind=compiled arch=gfx950 opt=O3
	.amdgcn_target "amdgcn-amd-amdhsa--gfx950"
	.amdhsa_code_object_version 6
	.section	.text._ZN9rocsolver6v33100L22larf_left_kernel_smallILi64EfiPfEEvT1_S3_T2_lS3_lPKT0_lS4_lS3_l,"axG",@progbits,_ZN9rocsolver6v33100L22larf_left_kernel_smallILi64EfiPfEEvT1_S3_T2_lS3_lPKT0_lS4_lS3_l,comdat
	.globl	_ZN9rocsolver6v33100L22larf_left_kernel_smallILi64EfiPfEEvT1_S3_T2_lS3_lPKT0_lS4_lS3_l ; -- Begin function _ZN9rocsolver6v33100L22larf_left_kernel_smallILi64EfiPfEEvT1_S3_T2_lS3_lPKT0_lS4_lS3_l
	.p2align	8
	.type	_ZN9rocsolver6v33100L22larf_left_kernel_smallILi64EfiPfEEvT1_S3_T2_lS3_lPKT0_lS4_lS3_l,@function
_ZN9rocsolver6v33100L22larf_left_kernel_smallILi64EfiPfEEvT1_S3_T2_lS3_lPKT0_lS4_lS3_l: ; @_ZN9rocsolver6v33100L22larf_left_kernel_smallILi64EfiPfEEvT1_S3_T2_lS3_lPKT0_lS4_lS3_l
; %bb.0:
	s_load_dwordx2 s[24:25], s[0:1], 0x0
	s_load_dwordx8 s[16:23], s[0:1], 0x20
	s_load_dwordx2 s[8:9], s[0:1], 0x40
	s_ashr_i32 s28, s2, 31
	s_waitcnt lgkmcnt(0)
	v_cmp_gt_i32_e64 s[14:15], s24, v0
	v_xad_u32 v4, v0, -1, s24
	s_and_saveexec_b64 s[10:11], s[14:15]
	s_cbranch_execz .LBB0_17
; %bb.1:
	s_load_dwordx4 s[4:7], s[0:1], 0x8
	s_load_dword s29, s[0:1], 0x18
	s_mul_i32 s12, s16, s28
	s_mul_hi_u32 s13, s16, s2
	s_add_i32 s12, s13, s12
	s_mul_i32 s13, s17, s2
	s_add_i32 s13, s12, s13
	s_mul_i32 s12, s16, s2
	s_lshl_b64 s[12:13], s[12:13], 2
	s_waitcnt lgkmcnt(0)
	s_add_u32 s12, s4, s12
	s_addc_u32 s13, s5, s13
	s_lshl_b64 s[4:5], s[6:7], 2
	s_add_u32 s12, s12, s4
	s_addc_u32 s13, s13, s5
	s_sub_i32 s4, 1, s24
	s_mul_i32 s4, s29, s4
	s_cmp_lt_i32 s29, 1
	s_cselect_b32 s30, s4, 0
	s_movk_i32 s4, 0x5bf
	v_cmp_lt_u32_e32 vcc, s4, v4
	s_mov_b64 s[4:5], 0
                                        ; implicit-def: $vgpr1
                                        ; implicit-def: $vgpr5
	s_and_saveexec_b64 s[6:7], vcc
	s_xor_b64 s[16:17], exec, s[6:7]
	s_cbranch_execnz .LBB0_4
; %bb.2:
	s_andn2_saveexec_b64 s[6:7], s[16:17]
	s_cbranch_execnz .LBB0_14
.LBB0_3:
	s_or_b64 exec, exec, s[6:7]
	s_and_b64 exec, exec, s[4:5]
	s_cbranch_execnz .LBB0_15
	s_branch .LBB0_17
.LBB0_4:
	s_lshl_b32 s31, s29, 6
	s_sub_i32 s6, 0, s31
	s_cmp_lt_i32 s31, 0
	s_cselect_b64 vcc, -1, 0
	s_and_b64 s[4:5], vcc, exec
	v_lshrrev_b32_e32 v5, 6, v4
	s_cselect_b32 s6, s6, s31
	v_mul_lo_u32 v1, v0, s29
	v_mul_hi_u32 v2, s6, v5
	v_add_u32_e32 v1, s30, v1
	v_cmp_eq_u32_e64 s[4:5], 0, v2
	v_mul_lo_u32 v2, s6, v5
	v_add_u32_e32 v3, v1, v2
	v_sub_u32_e32 v2, v1, v2
	v_cmp_gt_i32_e64 s[6:7], v2, v1
	s_nop 1
	v_cndmask_b32_e64 v2, 0, 1, s[6:7]
	v_cmp_lt_i32_e64 s[6:7], v3, v1
	s_nop 1
	v_cndmask_b32_e64 v1, 0, 1, s[6:7]
	v_cndmask_b32_e32 v1, v1, v2, vcc
	v_and_b32_e32 v1, 1, v1
	v_cmp_eq_u32_e32 vcc, 1, v1
	s_xor_b64 s[26:27], vcc, -1
	s_mov_b64 s[6:7], -1
	s_and_b64 s[26:27], s[26:27], s[4:5]
	v_mov_b32_e32 v1, v0
	s_and_saveexec_b64 s[4:5], s[26:27]
	s_cbranch_execz .LBB0_13
; %bb.5:
	v_add_u32_e32 v2, -1, v5
	v_or_b32_e32 v1, 64, v0
	v_lshrrev_b32_e32 v3, 1, v2
	s_mov_b32 s33, 0
	v_add_u32_e32 v6, 1, v3
	v_cmp_lt_u32_e32 vcc, 5, v2
	v_mov_b32_e32 v9, 0
	v_mov_b64_e32 v[2:3], v[0:1]
	s_and_saveexec_b64 s[6:7], vcc
	s_cbranch_execz .LBB0_9
; %bb.6:
	v_and_b32_e32 v7, -4, v6
	v_lshlrev_b32_e32 v8, 2, v0
	s_mov_b64 s[26:27], 0
	v_mov_b64_e32 v[2:3], v[0:1]
.LBB0_7:                                ; =>This Inner Loop Header: Depth=1
	v_mul_lo_u32 v1, v3, s29
	v_mul_lo_u32 v9, v2, s29
	v_add_u32_e32 v11, 0x80, v2
	v_add_u32_e32 v13, 0x80, v3
	;; [unrolled: 1-line block ×8, first 2 shown]
	v_mul_lo_u32 v1, v13, s29
	v_mul_lo_u32 v9, v11, s29
	;; [unrolled: 1-line block ×6, first 2 shown]
	v_ashrrev_i32_e32 v11, 31, v10
	v_add_u32_e32 v14, s30, v9
	v_add_u32_e32 v16, s30, v1
	v_add_u32_e32 v18, s30, v18
	v_add_u32_e32 v20, s30, v15
	v_add_u32_e32 v22, s30, v19
	v_add_u32_e32 v24, s30, v17
	v_ashrrev_i32_e32 v13, 31, v12
	v_lshl_add_u64 v[10:11], v[10:11], 2, s[12:13]
	v_ashrrev_i32_e32 v17, 31, v16
	v_ashrrev_i32_e32 v15, 31, v14
	;; [unrolled: 1-line block ×6, first 2 shown]
	v_lshl_add_u64 v[12:13], v[12:13], 2, s[12:13]
	v_lshl_add_u64 v[14:15], v[14:15], 2, s[12:13]
	;; [unrolled: 1-line block ×7, first 2 shown]
	global_load_dword v1, v[10:11], off
	global_load_dword v26, v[12:13], off
	global_load_dword v27, v[14:15], off
	global_load_dword v28, v[16:17], off
	global_load_dword v29, v[18:19], off
	global_load_dword v30, v[20:21], off
	global_load_dword v31, v[22:23], off
	global_load_dword v32, v[24:25], off
	v_add_u32_e32 v7, -4, v7
	s_add_i32 s33, s33, 8
	v_cmp_eq_u32_e32 vcc, 0, v7
	v_add_u32_e32 v3, 0x200, v3
	v_add_u32_e32 v2, 0x200, v2
	v_mov_b32_e32 v9, s33
	s_or_b64 s[26:27], vcc, s[26:27]
	s_waitcnt vmcnt(6)
	ds_write2st64_b32 v8, v1, v26 offset1:1
	s_waitcnt vmcnt(4)
	ds_write2st64_b32 v8, v27, v28 offset0:2 offset1:3
	s_waitcnt vmcnt(2)
	ds_write2st64_b32 v8, v29, v30 offset0:4 offset1:5
	;; [unrolled: 2-line block ×3, first 2 shown]
	v_add_u32_e32 v8, 0x800, v8
	s_andn2_b64 exec, exec, s[26:27]
	s_cbranch_execnz .LBB0_7
; %bb.8:
	s_or_b64 exec, exec, s[26:27]
.LBB0_9:
	s_or_b64 exec, exec, s[6:7]
	v_and_b32_e32 v1, 3, v6
	v_cmp_ne_u32_e32 vcc, 0, v1
	s_and_saveexec_b64 s[6:7], vcc
	s_cbranch_execz .LBB0_12
; %bb.10:
	v_lshlrev_b32_e32 v6, 2, v0
	v_lshl_or_b32 v6, v9, 8, v6
	s_mov_b64 s[26:27], 0
.LBB0_11:                               ; =>This Inner Loop Header: Depth=1
	v_mul_lo_u32 v8, v2, s29
	v_mul_lo_u32 v7, v3, s29
	v_add_u32_e32 v8, s30, v8
	v_add_u32_e32 v10, s30, v7
	v_ashrrev_i32_e32 v9, 31, v8
	v_ashrrev_i32_e32 v11, 31, v10
	v_lshl_add_u64 v[8:9], v[8:9], 2, s[12:13]
	v_lshl_add_u64 v[10:11], v[10:11], 2, s[12:13]
	global_load_dword v7, v[8:9], off
	global_load_dword v12, v[10:11], off
	v_add_u32_e32 v1, -1, v1
	v_cmp_eq_u32_e32 vcc, 0, v1
	v_add_u32_e32 v3, 0x80, v3
	v_add_u32_e32 v2, 0x80, v2
	s_or_b64 s[26:27], vcc, s[26:27]
	s_waitcnt vmcnt(0)
	ds_write2st64_b32 v6, v7, v12 offset1:1
	v_add_u32_e32 v6, 0x200, v6
	s_andn2_b64 exec, exec, s[26:27]
	s_cbranch_execnz .LBB0_11
.LBB0_12:
	s_or_b64 exec, exec, s[6:7]
	v_add_u32_e32 v2, 1, v5
	v_and_b32_e32 v3, 0x7fffffe, v2
	v_cmp_ne_u32_e32 vcc, v2, v3
	v_lshl_or_b32 v1, v3, 6, v0
	s_orn2_b64 s[6:7], vcc, exec
.LBB0_13:
	s_or_b64 exec, exec, s[4:5]
	v_mov_b32_e32 v5, s31
	s_and_b64 s[4:5], s[6:7], exec
	s_andn2_saveexec_b64 s[6:7], s[16:17]
	s_cbranch_execz .LBB0_3
.LBB0_14:
	s_lshl_b32 s16, s29, 6
	v_mov_b32_e32 v5, s16
	s_or_b64 s[4:5], s[4:5], exec
	v_mov_b32_e32 v1, v0
	s_or_b64 exec, exec, s[6:7]
	s_and_b64 exec, exec, s[4:5]
	s_cbranch_execz .LBB0_17
.LBB0_15:
	v_mul_lo_u32 v2, v1, s29
	v_add_u32_e32 v2, s30, v2
	v_lshlrev_b32_e32 v6, 2, v1
	s_mov_b64 s[4:5], 0
.LBB0_16:                               ; =>This Inner Loop Header: Depth=1
	v_ashrrev_i32_e32 v3, 31, v2
	v_lshl_add_u64 v[8:9], v[2:3], 2, s[12:13]
	global_load_dword v3, v[8:9], off
	v_add_u32_e32 v1, 64, v1
	v_cmp_le_i32_e32 vcc, s24, v1
	v_add_u32_e32 v2, v2, v5
	s_or_b64 s[4:5], vcc, s[4:5]
	s_waitcnt vmcnt(0)
	ds_write_b32 v6, v3
	v_add_u32_e32 v6, 0x100, v6
	s_andn2_b64 exec, exec, s[4:5]
	s_cbranch_execnz .LBB0_16
.LBB0_17:
	s_or_b64 exec, exec, s[10:11]
	s_cmp_ge_i32 s3, s25
	s_waitcnt lgkmcnt(0)
	; wave barrier
	s_cbranch_scc1 .LBB0_53
; %bb.18:
	s_load_dwordx2 s[4:5], s[0:1], 0x50
	s_load_dword s33, s[0:1], 0x48
	v_lshrrev_b32_e32 v1, 6, v4
	v_add_u32_e32 v3, -1, v1
	v_add_u32_e32 v2, 1, v1
	s_waitcnt lgkmcnt(0)
	s_mul_i32 s1, s4, s28
	s_mul_hi_u32 s6, s4, s2
	s_mul_i32 s5, s5, s2
	s_add_i32 s1, s6, s1
	s_mul_i32 s0, s4, s2
	s_add_i32 s1, s1, s5
	s_lshl_b64 s[30:31], s[0:1], 2
	s_add_u32 s0, s22, s30
	s_addc_u32 s1, s23, s31
	s_lshl_b64 s[34:35], s[8:9], 2
	s_add_u32 s16, s0, s34
	s_addc_u32 s17, s1, s35
	s_mul_i32 s0, s20, s28
	s_mul_hi_u32 s1, s20, s2
	s_add_i32 s0, s1, s0
	s_mul_i32 s1, s21, s2
	s_add_i32 s1, s0, s1
	s_mul_i32 s0, s20, s2
	s_lshl_b64 s[0:1], s[0:1], 2
	s_add_u32 s18, s18, s0
	s_addc_u32 s19, s19, s1
	s_cmp_gt_i32 s24, 1
	s_movk_i32 s2, 0x1bf
	s_cselect_b64 s[20:21], -1, 0
	v_cmp_lt_u32_e64 s[4:5], s2, v4
	s_add_u32 s2, s30, s34
	v_lshrrev_b32_e32 v1, 1, v3
	s_addc_u32 s28, s31, s35
	v_add_u32_e32 v5, 1, v1
	v_cmp_lt_u32_e64 s[6:7], 63, v4
	v_and_b32_e32 v4, 0x7fffffe, v2
	s_add_u32 s22, s22, s2
	v_lshl_or_b32 v15, v4, 6, v0
	v_and_b32_e32 v16, 3, v5
	v_and_b32_e32 v17, -4, v5
	v_cmp_ne_u32_e64 s[12:13], v2, v4
	v_mov_b32_e32 v5, 0
	s_addc_u32 s23, s23, s28
	s_lshl_b32 s2, s33, 6
	v_mbcnt_lo_u32_b32 v4, -1, 0
	v_and_b32_e32 v8, 7, v2
	v_cmp_lt_u32_e64 s[8:9], 5, v3
	v_lshlrev_b32_e32 v2, 2, v0
	v_mov_b32_e32 v3, v5
	s_add_u32 s46, s22, 0x700
	v_mbcnt_hi_u32_b32 v18, -1, v4
	v_mov_b32_e32 v4, 0x80
	v_cmp_eq_u32_e64 s[26:27], 0, v0
	v_lshrrev_b32_e32 v14, 4, v0
	v_cmp_ne_u32_e64 s[0:1], 0, v8
	v_or_b32_e32 v1, 64, v0
	v_cmp_ne_u32_e64 s[10:11], 0, v16
	v_lshl_add_u64 v[6:7], s[22:23], 0, v[2:3]
	s_mul_i32 s28, s3, s33
	v_lshlrev_b32_e32 v3, 2, v8
	s_addc_u32 s47, s23, 0
	s_mov_b64 s[30:31], 0x100
	s_mov_b64 s[34:35], 0x800
	v_and_b32_e32 v19, 63, v18
	v_lshl_or_b32 v20, v18, 2, v4
	s_branch .LBB0_20
.LBB0_19:                               ;   in Loop: Header=BB0_20 Depth=1
	s_or_b64 exec, exec, s[38:39]
	s_add_i32 s3, s3, 64
	s_add_i32 s28, s28, s2
	s_cmp_ge_i32 s3, s25
	s_cbranch_scc1 .LBB0_53
.LBB0_20:                               ; =>This Loop Header: Depth=1
                                        ;     Child Loop BB0_23 Depth 2
                                        ;     Child Loop BB0_27 Depth 2
	;; [unrolled: 1-line block ×5, first 2 shown]
	s_ashr_i32 s29, s28, 31
	s_lshl_b64 s[36:37], s[28:29], 2
	v_mov_b32_e32 v10, 0
	s_and_saveexec_b64 s[38:39], s[14:15]
	s_cbranch_execz .LBB0_30
; %bb.21:                               ;   in Loop: Header=BB0_20 Depth=1
	v_mov_b32_e32 v10, 0
	v_mov_b32_e32 v4, v0
	s_and_saveexec_b64 s[40:41], s[0:1]
	s_cbranch_execz .LBB0_25
; %bb.22:                               ;   in Loop: Header=BB0_20 Depth=1
	v_lshl_add_u64 v[8:9], v[6:7], 0, s[36:37]
	v_mov_b32_e32 v10, 0
	s_mov_b64 s[42:43], 0
	v_mov_b32_e32 v11, v3
	v_mov_b32_e32 v12, v2
	;; [unrolled: 1-line block ×3, first 2 shown]
.LBB0_23:                               ;   Parent Loop BB0_20 Depth=1
                                        ; =>  This Inner Loop Header: Depth=2
	global_load_dword v13, v[8:9], off
	ds_read_b32 v21, v12
	v_add_u32_e32 v11, -4, v11
	v_cmp_eq_u32_e32 vcc, 0, v11
	v_add_u32_e32 v4, 64, v4
	v_add_u32_e32 v12, 0x100, v12
	v_lshl_add_u64 v[8:9], v[8:9], 0, s[30:31]
	s_or_b64 s[42:43], vcc, s[42:43]
	s_waitcnt vmcnt(0) lgkmcnt(0)
	v_fmac_f32_e32 v10, v21, v13
	s_andn2_b64 exec, exec, s[42:43]
	s_cbranch_execnz .LBB0_23
; %bb.24:                               ;   in Loop: Header=BB0_20 Depth=1
	s_or_b64 exec, exec, s[42:43]
.LBB0_25:                               ;   in Loop: Header=BB0_20 Depth=1
	s_or_b64 exec, exec, s[40:41]
	s_and_saveexec_b64 s[40:41], s[4:5]
	s_cbranch_execz .LBB0_29
; %bb.26:                               ;   in Loop: Header=BB0_20 Depth=1
	s_add_u32 s42, s46, s36
	s_addc_u32 s43, s47, s37
	v_lshlrev_b32_e32 v11, 2, v4
	v_lshl_add_u64 v[8:9], v[4:5], 2, s[42:43]
	s_mov_b64 s[42:43], 0
.LBB0_27:                               ;   Parent Loop BB0_20 Depth=1
                                        ; =>  This Inner Loop Header: Depth=2
	global_load_dword v21, v[8:9], off offset:-1792
	global_load_dword v28, v[8:9], off offset:-1536
	;; [unrolled: 1-line block ×7, first 2 shown]
	global_load_dword v34, v[8:9], off
	ds_read2st64_b32 v[12:13], v11 offset1:1
	ds_read2st64_b32 v[22:23], v11 offset0:2 offset1:3
	ds_read2st64_b32 v[24:25], v11 offset0:4 offset1:5
	;; [unrolled: 1-line block ×3, first 2 shown]
	v_add_u32_e32 v4, 0x200, v4
	v_cmp_le_i32_e32 vcc, s24, v4
	v_add_u32_e32 v11, 0x800, v11
	v_lshl_add_u64 v[8:9], v[8:9], 0, s[34:35]
	s_or_b64 s[42:43], vcc, s[42:43]
	s_waitcnt vmcnt(7) lgkmcnt(3)
	v_fmac_f32_e32 v10, v12, v21
	s_waitcnt vmcnt(6)
	v_fmac_f32_e32 v10, v13, v28
	s_waitcnt vmcnt(5) lgkmcnt(2)
	v_fmac_f32_e32 v10, v22, v29
	s_waitcnt vmcnt(4)
	v_fmac_f32_e32 v10, v23, v30
	;; [unrolled: 4-line block ×4, first 2 shown]
	s_andn2_b64 exec, exec, s[42:43]
	s_cbranch_execnz .LBB0_27
; %bb.28:                               ;   in Loop: Header=BB0_20 Depth=1
	s_or_b64 exec, exec, s[42:43]
.LBB0_29:                               ;   in Loop: Header=BB0_20 Depth=1
	s_or_b64 exec, exec, s[40:41]
.LBB0_30:                               ;   in Loop: Header=BB0_20 Depth=1
	s_or_b64 exec, exec, s[38:39]
	s_and_b64 vcc, exec, s[20:21]
	s_cbranch_vccz .LBB0_35
; %bb.31:                               ;   in Loop: Header=BB0_20 Depth=1
	v_cmp_ne_u32_e32 vcc, 63, v19
	s_nop 1
	v_addc_co_u32_e32 v4, vcc, 0, v18, vcc
	v_lshlrev_b32_e32 v4, 2, v4
	ds_bpermute_b32 v4, v4, v10
	v_cmp_gt_u32_e32 vcc, 62, v19
	s_waitcnt lgkmcnt(0)
	v_add_f32_e32 v4, v10, v4
	v_cndmask_b32_e64 v8, 0, 2, vcc
	v_add_lshl_u32 v8, v8, v18, 2
	ds_bpermute_b32 v8, v8, v4
	v_cmp_gt_u32_e32 vcc, 60, v19
	s_waitcnt lgkmcnt(0)
	v_add_f32_e32 v4, v4, v8
	v_cndmask_b32_e64 v9, 0, 4, vcc
	v_add_lshl_u32 v9, v9, v18, 2
	;; [unrolled: 6-line block ×4, first 2 shown]
	ds_bpermute_b32 v8, v8, v4
	s_waitcnt lgkmcnt(0)
	v_add_f32_e32 v4, v4, v8
	ds_bpermute_b32 v8, v20, v4
	s_waitcnt lgkmcnt(0)
	v_add_f32_e32 v4, v4, v8
	s_and_saveexec_b64 s[38:39], s[26:27]
; %bb.32:                               ;   in Loop: Header=BB0_20 Depth=1
	ds_write_b32 v14, v4 offset:8192
; %bb.33:                               ;   in Loop: Header=BB0_20 Depth=1
	s_or_b64 exec, exec, s[38:39]
	s_waitcnt lgkmcnt(0)
	; wave barrier
	s_mov_b64 s[38:39], s[26:27]
.LBB0_34:                               ;   in Loop: Header=BB0_20 Depth=1
	v_mov_b32_e32 v10, v4
	s_and_saveexec_b64 s[40:41], s[38:39]
	s_cbranch_execnz .LBB0_37
	s_branch .LBB0_38
.LBB0_35:                               ;   in Loop: Header=BB0_20 Depth=1
	s_mov_b64 s[38:39], 0
                                        ; implicit-def: $vgpr4
	s_cbranch_execz .LBB0_34
; %bb.36:                               ;   in Loop: Header=BB0_20 Depth=1
	s_andn2_b64 s[38:39], s[38:39], exec
	s_and_b64 s[40:41], s[26:27], exec
	s_or_b64 s[38:39], s[38:39], s[40:41]
	s_and_saveexec_b64 s[40:41], s[38:39]
.LBB0_37:                               ;   in Loop: Header=BB0_20 Depth=1
	ds_write_b32 v5, v10 offset:8192
.LBB0_38:                               ;   in Loop: Header=BB0_20 Depth=1
	s_or_b64 exec, exec, s[40:41]
	s_waitcnt lgkmcnt(0)
	; wave barrier
	s_and_saveexec_b64 s[38:39], s[14:15]
	s_cbranch_execz .LBB0_19
; %bb.39:                               ;   in Loop: Header=BB0_20 Depth=1
	global_load_dword v4, v5, s[18:19]
	ds_read_b32 v8, v5 offset:8192
	s_mov_b64 s[42:43], -1
	v_mov_b32_e32 v10, v0
	s_waitcnt vmcnt(0) lgkmcnt(0)
	v_mul_f32_e64 v8, v8, -v4
	v_mov_b32_e32 v4, v2
	s_and_saveexec_b64 s[40:41], s[6:7]
	s_cbranch_execz .LBB0_50
; %bb.40:                               ;   in Loop: Header=BB0_20 Depth=1
	s_mul_i32 s29, s3, s33
	v_mov_b32_e32 v9, v8
	v_mov_b32_e32 v13, 0
	v_mov_b64_e32 v[10:11], v[0:1]
	s_and_saveexec_b64 s[42:43], s[8:9]
	s_cbranch_execz .LBB0_44
; %bb.41:                               ;   in Loop: Header=BB0_20 Depth=1
	s_add_i32 s48, s29, 0x80
	s_add_i32 s50, s29, 0x100
	;; [unrolled: 1-line block ×3, first 2 shown]
	s_mov_b32 s49, s48
	s_mov_b32 s51, s50
	;; [unrolled: 1-line block ×4, first 2 shown]
	s_mov_b64 s[44:45], 0
	v_mov_b32_e32 v4, v17
	v_mov_b32_e32 v12, v2
	v_mov_b64_e32 v[10:11], v[0:1]
.LBB0_42:                               ;   Parent Loop BB0_20 Depth=1
                                        ; =>  This Inner Loop Header: Depth=2
	v_add_u32_e32 v22, s29, v10
	v_add_u32_e32 v24, s29, v11
	v_ashrrev_i32_e32 v23, 31, v22
	v_ashrrev_i32_e32 v25, 31, v24
	v_lshl_add_u64 v[22:23], v[22:23], 2, s[16:17]
	v_lshl_add_u64 v[24:25], v[24:25], 2, s[16:17]
	global_load_dword v26, v[22:23], off
	global_load_dword v27, v[24:25], off
	ds_read2st64_b32 v[32:33], v12 offset1:1
	ds_read2st64_b32 v[34:35], v12 offset0:2 offset1:3
	ds_read2st64_b32 v[36:37], v12 offset0:4 offset1:5
	;; [unrolled: 1-line block ×3, first 2 shown]
	v_add_u32_e32 v28, s48, v10
	v_add_u32_e32 v30, s49, v11
	v_ashrrev_i32_e32 v29, 31, v28
	v_ashrrev_i32_e32 v31, 31, v30
	v_lshl_add_u64 v[28:29], v[28:29], 2, s[16:17]
	v_lshl_add_u64 v[30:31], v[30:31], 2, s[16:17]
	v_add_u32_e32 v4, -4, v4
	s_add_i32 s54, s54, 8
	v_cmp_eq_u32_e32 vcc, 0, v4
	v_add_u32_e32 v12, 0x800, v12
	v_mov_b32_e32 v13, s54
	s_or_b64 s[44:45], vcc, s[44:45]
	s_waitcnt vmcnt(0) lgkmcnt(3)
	v_pk_fma_f32 v[26:27], v[8:9], v[32:33], v[26:27]
	global_store_dword v[22:23], v26, off
	global_store_dword v[24:25], v27, off
	global_load_dword v22, v[28:29], off
	s_nop 0
	global_load_dword v23, v[30:31], off
	v_add_u32_e32 v24, s50, v10
	v_add_u32_e32 v26, s51, v11
	v_ashrrev_i32_e32 v25, 31, v24
	v_ashrrev_i32_e32 v27, 31, v26
	v_lshl_add_u64 v[24:25], v[24:25], 2, s[16:17]
	v_lshl_add_u64 v[26:27], v[26:27], 2, s[16:17]
	s_waitcnt vmcnt(0) lgkmcnt(2)
	v_pk_fma_f32 v[22:23], v[8:9], v[34:35], v[22:23]
	global_store_dword v[28:29], v22, off
	global_store_dword v[30:31], v23, off
	global_load_dword v22, v[24:25], off
	s_nop 0
	global_load_dword v23, v[26:27], off
	v_add_u32_e32 v28, s52, v10
	v_add_u32_e32 v30, s53, v11
	v_ashrrev_i32_e32 v29, 31, v28
	v_ashrrev_i32_e32 v31, 31, v30
	v_lshl_add_u64 v[28:29], v[28:29], 2, s[16:17]
	v_lshl_add_u64 v[30:31], v[30:31], 2, s[16:17]
	v_add_u32_e32 v11, 0x200, v11
	v_add_u32_e32 v10, 0x200, v10
	s_waitcnt vmcnt(0) lgkmcnt(1)
	v_pk_fma_f32 v[22:23], v[8:9], v[36:37], v[22:23]
	global_store_dword v[24:25], v22, off
	global_store_dword v[26:27], v23, off
	global_load_dword v22, v[28:29], off
	s_nop 0
	global_load_dword v23, v[30:31], off
	s_waitcnt vmcnt(0) lgkmcnt(0)
	v_pk_fma_f32 v[22:23], v[8:9], v[38:39], v[22:23]
	global_store_dword v[28:29], v22, off
	global_store_dword v[30:31], v23, off
	s_andn2_b64 exec, exec, s[44:45]
	s_cbranch_execnz .LBB0_42
; %bb.43:                               ;   in Loop: Header=BB0_20 Depth=1
	s_or_b64 exec, exec, s[44:45]
.LBB0_44:                               ;   in Loop: Header=BB0_20 Depth=1
	s_or_b64 exec, exec, s[42:43]
	s_and_saveexec_b64 s[42:43], s[10:11]
	s_cbranch_execz .LBB0_47
; %bb.45:                               ;   in Loop: Header=BB0_20 Depth=1
	v_lshl_or_b32 v4, v13, 8, v2
	s_mov_b64 s[44:45], 0
	v_mov_b32_e32 v12, v16
.LBB0_46:                               ;   Parent Loop BB0_20 Depth=1
                                        ; =>  This Inner Loop Header: Depth=2
	v_add_u32_e32 v22, s29, v10
	v_add_u32_e32 v24, s29, v11
	v_ashrrev_i32_e32 v23, 31, v22
	v_ashrrev_i32_e32 v25, 31, v24
	v_lshl_add_u64 v[22:23], v[22:23], 2, s[16:17]
	v_lshl_add_u64 v[24:25], v[24:25], 2, s[16:17]
	global_load_dword v26, v[22:23], off
	global_load_dword v27, v[24:25], off
	ds_read2st64_b32 v[28:29], v4 offset1:1
	v_add_u32_e32 v12, -1, v12
	v_cmp_eq_u32_e32 vcc, 0, v12
	v_add_u32_e32 v11, 0x80, v11
	v_add_u32_e32 v10, 0x80, v10
	;; [unrolled: 1-line block ×3, first 2 shown]
	s_or_b64 s[44:45], vcc, s[44:45]
	s_waitcnt vmcnt(0) lgkmcnt(0)
	v_pk_fma_f32 v[26:27], v[8:9], v[28:29], v[26:27]
	global_store_dword v[22:23], v26, off
	global_store_dword v[24:25], v27, off
	s_andn2_b64 exec, exec, s[44:45]
	s_cbranch_execnz .LBB0_46
.LBB0_47:                               ;   in Loop: Header=BB0_20 Depth=1
	s_or_b64 exec, exec, s[42:43]
	s_mov_b64 s[42:43], 0
                                        ; implicit-def: $vgpr4
	s_and_saveexec_b64 s[44:45], s[12:13]
; %bb.48:                               ;   in Loop: Header=BB0_20 Depth=1
	s_mov_b64 s[42:43], exec
	v_lshlrev_b32_e32 v4, 2, v15
; %bb.49:                               ;   in Loop: Header=BB0_20 Depth=1
	s_or_b64 exec, exec, s[44:45]
	s_orn2_b64 s[42:43], s[42:43], exec
	v_mov_b32_e32 v10, v15
.LBB0_50:                               ;   in Loop: Header=BB0_20 Depth=1
	s_or_b64 exec, exec, s[40:41]
	s_and_b64 exec, exec, s[42:43]
	s_cbranch_execz .LBB0_19
; %bb.51:                               ;   in Loop: Header=BB0_20 Depth=1
	s_add_u32 s36, s22, s36
	v_ashrrev_i32_e32 v11, 31, v10
	s_addc_u32 s37, s23, s37
	v_lshl_add_u64 v[12:13], v[10:11], 2, s[36:37]
	s_mov_b64 s[36:37], 0
.LBB0_52:                               ;   Parent Loop BB0_20 Depth=1
                                        ; =>  This Inner Loop Header: Depth=2
	global_load_dword v9, v[12:13], off
	ds_read_b32 v11, v4
	v_add_u32_e32 v10, 64, v10
	v_cmp_le_i32_e32 vcc, s24, v10
	s_or_b64 s[36:37], vcc, s[36:37]
	v_add_u32_e32 v4, 0x100, v4
	s_waitcnt vmcnt(0) lgkmcnt(0)
	v_fmac_f32_e32 v9, v8, v11
	global_store_dword v[12:13], v9, off
	v_lshl_add_u64 v[12:13], v[12:13], 0, s[30:31]
	s_andn2_b64 exec, exec, s[36:37]
	s_cbranch_execnz .LBB0_52
	s_branch .LBB0_19
.LBB0_53:
	s_endpgm
	.section	.rodata,"a",@progbits
	.p2align	6, 0x0
	.amdhsa_kernel _ZN9rocsolver6v33100L22larf_left_kernel_smallILi64EfiPfEEvT1_S3_T2_lS3_lPKT0_lS4_lS3_l
		.amdhsa_group_segment_fixed_size 8448
		.amdhsa_private_segment_fixed_size 0
		.amdhsa_kernarg_size 88
		.amdhsa_user_sgpr_count 2
		.amdhsa_user_sgpr_dispatch_ptr 0
		.amdhsa_user_sgpr_queue_ptr 0
		.amdhsa_user_sgpr_kernarg_segment_ptr 1
		.amdhsa_user_sgpr_dispatch_id 0
		.amdhsa_user_sgpr_kernarg_preload_length 0
		.amdhsa_user_sgpr_kernarg_preload_offset 0
		.amdhsa_user_sgpr_private_segment_size 0
		.amdhsa_uses_dynamic_stack 0
		.amdhsa_enable_private_segment 0
		.amdhsa_system_sgpr_workgroup_id_x 1
		.amdhsa_system_sgpr_workgroup_id_y 1
		.amdhsa_system_sgpr_workgroup_id_z 0
		.amdhsa_system_sgpr_workgroup_info 0
		.amdhsa_system_vgpr_workitem_id 0
		.amdhsa_next_free_vgpr 81
		.amdhsa_next_free_sgpr 96
		.amdhsa_accum_offset 40
		.amdhsa_reserve_vcc 1
		.amdhsa_float_round_mode_32 0
		.amdhsa_float_round_mode_16_64 0
		.amdhsa_float_denorm_mode_32 3
		.amdhsa_float_denorm_mode_16_64 3
		.amdhsa_dx10_clamp 1
		.amdhsa_ieee_mode 1
		.amdhsa_fp16_overflow 0
		.amdhsa_tg_split 0
		.amdhsa_exception_fp_ieee_invalid_op 0
		.amdhsa_exception_fp_denorm_src 0
		.amdhsa_exception_fp_ieee_div_zero 0
		.amdhsa_exception_fp_ieee_overflow 0
		.amdhsa_exception_fp_ieee_underflow 0
		.amdhsa_exception_fp_ieee_inexact 0
		.amdhsa_exception_int_div_zero 0
	.end_amdhsa_kernel
	.section	.text._ZN9rocsolver6v33100L22larf_left_kernel_smallILi64EfiPfEEvT1_S3_T2_lS3_lPKT0_lS4_lS3_l,"axG",@progbits,_ZN9rocsolver6v33100L22larf_left_kernel_smallILi64EfiPfEEvT1_S3_T2_lS3_lPKT0_lS4_lS3_l,comdat
.Lfunc_end0:
	.size	_ZN9rocsolver6v33100L22larf_left_kernel_smallILi64EfiPfEEvT1_S3_T2_lS3_lPKT0_lS4_lS3_l, .Lfunc_end0-_ZN9rocsolver6v33100L22larf_left_kernel_smallILi64EfiPfEEvT1_S3_T2_lS3_lPKT0_lS4_lS3_l
                                        ; -- End function
	.set _ZN9rocsolver6v33100L22larf_left_kernel_smallILi64EfiPfEEvT1_S3_T2_lS3_lPKT0_lS4_lS3_l.num_vgpr, 40
	.set _ZN9rocsolver6v33100L22larf_left_kernel_smallILi64EfiPfEEvT1_S3_T2_lS3_lPKT0_lS4_lS3_l.num_agpr, 0
	.set _ZN9rocsolver6v33100L22larf_left_kernel_smallILi64EfiPfEEvT1_S3_T2_lS3_lPKT0_lS4_lS3_l.numbered_sgpr, 55
	.set _ZN9rocsolver6v33100L22larf_left_kernel_smallILi64EfiPfEEvT1_S3_T2_lS3_lPKT0_lS4_lS3_l.num_named_barrier, 0
	.set _ZN9rocsolver6v33100L22larf_left_kernel_smallILi64EfiPfEEvT1_S3_T2_lS3_lPKT0_lS4_lS3_l.private_seg_size, 0
	.set _ZN9rocsolver6v33100L22larf_left_kernel_smallILi64EfiPfEEvT1_S3_T2_lS3_lPKT0_lS4_lS3_l.uses_vcc, 1
	.set _ZN9rocsolver6v33100L22larf_left_kernel_smallILi64EfiPfEEvT1_S3_T2_lS3_lPKT0_lS4_lS3_l.uses_flat_scratch, 0
	.set _ZN9rocsolver6v33100L22larf_left_kernel_smallILi64EfiPfEEvT1_S3_T2_lS3_lPKT0_lS4_lS3_l.has_dyn_sized_stack, 0
	.set _ZN9rocsolver6v33100L22larf_left_kernel_smallILi64EfiPfEEvT1_S3_T2_lS3_lPKT0_lS4_lS3_l.has_recursion, 0
	.set _ZN9rocsolver6v33100L22larf_left_kernel_smallILi64EfiPfEEvT1_S3_T2_lS3_lPKT0_lS4_lS3_l.has_indirect_call, 0
	.section	.AMDGPU.csdata,"",@progbits
; Kernel info:
; codeLenInByte = 3000
; TotalNumSgprs: 61
; NumVgprs: 40
; NumAgprs: 0
; TotalNumVgprs: 40
; ScratchSize: 0
; MemoryBound: 0
; FloatMode: 240
; IeeeMode: 1
; LDSByteSize: 8448 bytes/workgroup (compile time only)
; SGPRBlocks: 12
; VGPRBlocks: 10
; NumSGPRsForWavesPerEU: 102
; NumVGPRsForWavesPerEU: 81
; AccumOffset: 40
; Occupancy: 5
; WaveLimiterHint : 1
; COMPUTE_PGM_RSRC2:SCRATCH_EN: 0
; COMPUTE_PGM_RSRC2:USER_SGPR: 2
; COMPUTE_PGM_RSRC2:TRAP_HANDLER: 0
; COMPUTE_PGM_RSRC2:TGID_X_EN: 1
; COMPUTE_PGM_RSRC2:TGID_Y_EN: 1
; COMPUTE_PGM_RSRC2:TGID_Z_EN: 0
; COMPUTE_PGM_RSRC2:TIDIG_COMP_CNT: 0
; COMPUTE_PGM_RSRC3_GFX90A:ACCUM_OFFSET: 9
; COMPUTE_PGM_RSRC3_GFX90A:TG_SPLIT: 0
	.section	.text._ZN9rocsolver6v33100L22larf_left_kernel_smallILi128EfiPfEEvT1_S3_T2_lS3_lPKT0_lS4_lS3_l,"axG",@progbits,_ZN9rocsolver6v33100L22larf_left_kernel_smallILi128EfiPfEEvT1_S3_T2_lS3_lPKT0_lS4_lS3_l,comdat
	.globl	_ZN9rocsolver6v33100L22larf_left_kernel_smallILi128EfiPfEEvT1_S3_T2_lS3_lPKT0_lS4_lS3_l ; -- Begin function _ZN9rocsolver6v33100L22larf_left_kernel_smallILi128EfiPfEEvT1_S3_T2_lS3_lPKT0_lS4_lS3_l
	.p2align	8
	.type	_ZN9rocsolver6v33100L22larf_left_kernel_smallILi128EfiPfEEvT1_S3_T2_lS3_lPKT0_lS4_lS3_l,@function
_ZN9rocsolver6v33100L22larf_left_kernel_smallILi128EfiPfEEvT1_S3_T2_lS3_lPKT0_lS4_lS3_l: ; @_ZN9rocsolver6v33100L22larf_left_kernel_smallILi128EfiPfEEvT1_S3_T2_lS3_lPKT0_lS4_lS3_l
; %bb.0:
	s_load_dwordx2 s[28:29], s[0:1], 0x0
	s_load_dwordx8 s[20:27], s[0:1], 0x20
	s_load_dwordx2 s[8:9], s[0:1], 0x40
	s_ashr_i32 s30, s2, 31
	s_waitcnt lgkmcnt(0)
	v_cmp_gt_i32_e64 s[18:19], s28, v0
	v_xad_u32 v4, v0, -1, s28
	s_and_saveexec_b64 s[10:11], s[18:19]
	s_cbranch_execz .LBB1_17
; %bb.1:
	s_load_dwordx4 s[4:7], s[0:1], 0x8
	s_load_dword s31, s[0:1], 0x18
	s_mul_i32 s12, s20, s30
	s_mul_hi_u32 s13, s20, s2
	s_add_i32 s12, s13, s12
	s_mul_i32 s13, s21, s2
	s_add_i32 s13, s12, s13
	s_mul_i32 s12, s20, s2
	s_lshl_b64 s[12:13], s[12:13], 2
	s_waitcnt lgkmcnt(0)
	s_add_u32 s12, s4, s12
	s_addc_u32 s13, s5, s13
	s_lshl_b64 s[4:5], s[6:7], 2
	s_add_u32 s12, s12, s4
	s_addc_u32 s13, s13, s5
	s_sub_i32 s4, 1, s28
	s_mul_i32 s4, s31, s4
	s_cmp_lt_i32 s31, 1
	s_cselect_b32 s20, s4, 0
	s_movk_i32 s4, 0xb7f
	v_cmp_lt_u32_e32 vcc, s4, v4
	s_mov_b64 s[4:5], 0
                                        ; implicit-def: $vgpr1
                                        ; implicit-def: $vgpr5
	s_and_saveexec_b64 s[6:7], vcc
	s_xor_b64 s[14:15], exec, s[6:7]
	s_cbranch_execnz .LBB1_4
; %bb.2:
	s_andn2_saveexec_b64 s[6:7], s[14:15]
	s_cbranch_execnz .LBB1_14
.LBB1_3:
	s_or_b64 exec, exec, s[6:7]
	s_and_b64 exec, exec, s[4:5]
	s_cbranch_execnz .LBB1_15
	s_branch .LBB1_17
.LBB1_4:
	s_lshl_b32 s21, s31, 7
	s_sub_i32 s6, 0, s21
	s_cmp_lt_i32 s21, 0
	s_cselect_b64 vcc, -1, 0
	s_and_b64 s[4:5], vcc, exec
	v_lshrrev_b32_e32 v5, 7, v4
	s_cselect_b32 s6, s6, s21
	v_mul_lo_u32 v1, v0, s31
	v_mul_hi_u32 v2, s6, v5
	v_add_u32_e32 v1, s20, v1
	v_cmp_eq_u32_e64 s[4:5], 0, v2
	v_mul_lo_u32 v2, s6, v5
	v_add_u32_e32 v3, v1, v2
	v_sub_u32_e32 v2, v1, v2
	v_cmp_gt_i32_e64 s[6:7], v2, v1
	s_nop 1
	v_cndmask_b32_e64 v2, 0, 1, s[6:7]
	v_cmp_lt_i32_e64 s[6:7], v3, v1
	s_nop 1
	v_cndmask_b32_e64 v1, 0, 1, s[6:7]
	v_cndmask_b32_e32 v1, v1, v2, vcc
	v_and_b32_e32 v1, 1, v1
	v_cmp_eq_u32_e32 vcc, 1, v1
	s_xor_b64 s[16:17], vcc, -1
	s_mov_b64 s[6:7], -1
	s_and_b64 s[16:17], s[16:17], s[4:5]
	v_mov_b32_e32 v1, v0
	s_and_saveexec_b64 s[4:5], s[16:17]
	s_cbranch_execz .LBB1_13
; %bb.5:
	v_add_u32_e32 v2, -1, v5
	v_or_b32_e32 v1, 0x80, v0
	v_lshrrev_b32_e32 v3, 1, v2
	s_mov_b32 s33, 0
	v_add_u32_e32 v6, 1, v3
	v_cmp_lt_u32_e32 vcc, 5, v2
	v_mov_b32_e32 v9, 0
	v_mov_b64_e32 v[2:3], v[0:1]
	s_and_saveexec_b64 s[6:7], vcc
	s_cbranch_execz .LBB1_9
; %bb.6:
	v_and_b32_e32 v7, -4, v6
	v_lshlrev_b32_e32 v8, 2, v0
	s_mov_b64 s[16:17], 0
	v_mov_b64_e32 v[2:3], v[0:1]
.LBB1_7:                                ; =>This Inner Loop Header: Depth=1
	v_mul_lo_u32 v1, v3, s31
	v_mul_lo_u32 v9, v2, s31
	v_add_u32_e32 v11, 0x100, v2
	v_add_u32_e32 v13, 0x100, v3
	;; [unrolled: 1-line block ×8, first 2 shown]
	v_mul_lo_u32 v1, v13, s31
	v_mul_lo_u32 v9, v11, s31
	;; [unrolled: 1-line block ×6, first 2 shown]
	v_ashrrev_i32_e32 v11, 31, v10
	v_add_u32_e32 v14, s20, v9
	v_add_u32_e32 v16, s20, v1
	;; [unrolled: 1-line block ×6, first 2 shown]
	v_ashrrev_i32_e32 v13, 31, v12
	v_lshl_add_u64 v[10:11], v[10:11], 2, s[12:13]
	v_ashrrev_i32_e32 v17, 31, v16
	v_ashrrev_i32_e32 v15, 31, v14
	;; [unrolled: 1-line block ×6, first 2 shown]
	v_lshl_add_u64 v[12:13], v[12:13], 2, s[12:13]
	v_lshl_add_u64 v[14:15], v[14:15], 2, s[12:13]
	;; [unrolled: 1-line block ×7, first 2 shown]
	global_load_dword v1, v[10:11], off
	global_load_dword v26, v[12:13], off
	;; [unrolled: 1-line block ×8, first 2 shown]
	v_add_u32_e32 v7, -4, v7
	s_add_i32 s33, s33, 8
	v_cmp_eq_u32_e32 vcc, 0, v7
	v_add_u32_e32 v3, 0x400, v3
	v_add_u32_e32 v2, 0x400, v2
	v_mov_b32_e32 v9, s33
	s_or_b64 s[16:17], vcc, s[16:17]
	s_waitcnt vmcnt(6)
	ds_write2st64_b32 v8, v1, v26 offset1:2
	s_waitcnt vmcnt(4)
	ds_write2st64_b32 v8, v27, v28 offset0:4 offset1:6
	s_waitcnt vmcnt(2)
	ds_write2st64_b32 v8, v29, v30 offset0:8 offset1:10
	;; [unrolled: 2-line block ×3, first 2 shown]
	v_add_u32_e32 v8, 0x1000, v8
	s_andn2_b64 exec, exec, s[16:17]
	s_cbranch_execnz .LBB1_7
; %bb.8:
	s_or_b64 exec, exec, s[16:17]
.LBB1_9:
	s_or_b64 exec, exec, s[6:7]
	v_and_b32_e32 v1, 3, v6
	v_cmp_ne_u32_e32 vcc, 0, v1
	s_and_saveexec_b64 s[6:7], vcc
	s_cbranch_execz .LBB1_12
; %bb.10:
	v_lshlrev_b32_e32 v6, 2, v0
	v_lshl_or_b32 v6, v9, 9, v6
	s_mov_b64 s[16:17], 0
.LBB1_11:                               ; =>This Inner Loop Header: Depth=1
	v_mul_lo_u32 v8, v2, s31
	v_mul_lo_u32 v7, v3, s31
	v_add_u32_e32 v8, s20, v8
	v_add_u32_e32 v10, s20, v7
	v_ashrrev_i32_e32 v9, 31, v8
	v_ashrrev_i32_e32 v11, 31, v10
	v_lshl_add_u64 v[8:9], v[8:9], 2, s[12:13]
	v_lshl_add_u64 v[10:11], v[10:11], 2, s[12:13]
	global_load_dword v7, v[8:9], off
	global_load_dword v12, v[10:11], off
	v_add_u32_e32 v1, -1, v1
	v_cmp_eq_u32_e32 vcc, 0, v1
	v_add_u32_e32 v3, 0x100, v3
	v_add_u32_e32 v2, 0x100, v2
	s_or_b64 s[16:17], vcc, s[16:17]
	s_waitcnt vmcnt(0)
	ds_write2st64_b32 v6, v7, v12 offset1:2
	v_add_u32_e32 v6, 0x400, v6
	s_andn2_b64 exec, exec, s[16:17]
	s_cbranch_execnz .LBB1_11
.LBB1_12:
	s_or_b64 exec, exec, s[6:7]
	v_add_u32_e32 v2, 1, v5
	v_and_b32_e32 v3, 0x3fffffe, v2
	v_cmp_ne_u32_e32 vcc, v2, v3
	v_lshl_or_b32 v1, v3, 7, v0
	s_orn2_b64 s[6:7], vcc, exec
.LBB1_13:
	s_or_b64 exec, exec, s[4:5]
	v_mov_b32_e32 v5, s21
	s_and_b64 s[4:5], s[6:7], exec
	s_andn2_saveexec_b64 s[6:7], s[14:15]
	s_cbranch_execz .LBB1_3
.LBB1_14:
	s_lshl_b32 s14, s31, 7
	v_mov_b32_e32 v5, s14
	s_or_b64 s[4:5], s[4:5], exec
	v_mov_b32_e32 v1, v0
	s_or_b64 exec, exec, s[6:7]
	s_and_b64 exec, exec, s[4:5]
	s_cbranch_execz .LBB1_17
.LBB1_15:
	v_mul_lo_u32 v2, v1, s31
	v_add_u32_e32 v2, s20, v2
	v_lshlrev_b32_e32 v6, 2, v1
	s_mov_b64 s[4:5], 0
.LBB1_16:                               ; =>This Inner Loop Header: Depth=1
	v_ashrrev_i32_e32 v3, 31, v2
	v_lshl_add_u64 v[8:9], v[2:3], 2, s[12:13]
	global_load_dword v3, v[8:9], off
	v_add_u32_e32 v1, 0x80, v1
	v_cmp_le_i32_e32 vcc, s28, v1
	v_add_u32_e32 v2, v2, v5
	s_or_b64 s[4:5], vcc, s[4:5]
	s_waitcnt vmcnt(0)
	ds_write_b32 v6, v3
	v_add_u32_e32 v6, 0x200, v6
	s_andn2_b64 exec, exec, s[4:5]
	s_cbranch_execnz .LBB1_16
.LBB1_17:
	s_or_b64 exec, exec, s[10:11]
	s_cmp_ge_i32 s3, s29
	s_waitcnt lgkmcnt(0)
	s_barrier
	s_cbranch_scc1 .LBB1_55
; %bb.18:
	s_load_dwordx2 s[4:5], s[0:1], 0x50
	s_load_dword s33, s[0:1], 0x48
	v_and_b32_e32 v1, 63, v0
	v_lshrrev_b32_e32 v14, 4, v0
	s_waitcnt lgkmcnt(0)
	s_mul_i32 s1, s4, s30
	s_mul_hi_u32 s6, s4, s2
	s_mul_i32 s5, s5, s2
	s_add_i32 s1, s6, s1
	s_mul_i32 s0, s4, s2
	s_add_i32 s1, s1, s5
	s_lshl_b64 s[34:35], s[0:1], 2
	s_add_u32 s0, s26, s34
	s_addc_u32 s1, s27, s35
	s_lshl_b64 s[36:37], s[8:9], 2
	s_add_u32 s20, s0, s36
	s_addc_u32 s21, s1, s37
	s_mul_i32 s0, s24, s30
	s_mul_hi_u32 s1, s24, s2
	s_add_i32 s0, s1, s0
	s_mul_i32 s1, s25, s2
	s_add_i32 s1, s0, s1
	s_mul_i32 s0, s24, s2
	s_lshl_b64 s[0:1], s[0:1], 2
	s_add_u32 s22, s22, s0
	s_addc_u32 s23, s23, s1
	s_movk_i32 s2, 0x37f
	s_cmp_gt_i32 s28, 1
	v_cmp_eq_u32_e64 s[0:1], 0, v1
	v_lshrrev_b32_e32 v1, 7, v4
	v_cmp_lt_u32_e64 s[8:9], s2, v4
	s_movk_i32 s2, 0x7f
	s_cselect_b64 s[24:25], -1, 0
	v_add_u32_e32 v3, -1, v1
	v_cmp_lt_u32_e64 s[10:11], s2, v4
	s_add_u32 s2, s34, s36
	v_add_u32_e32 v2, 1, v1
	v_lshrrev_b32_e32 v1, 1, v3
	s_addc_u32 s30, s35, s37
	v_add_u32_e32 v5, 1, v1
	v_and_b32_e32 v4, 0x3fffffe, v2
	s_add_u32 s26, s26, s2
	v_lshl_or_b32 v15, v4, 7, v0
	v_and_b32_e32 v16, 3, v5
	v_and_b32_e32 v17, -4, v5
	v_cmp_ne_u32_e64 s[16:17], v2, v4
	v_mov_b32_e32 v5, 0
	s_addc_u32 s27, s27, s30
	s_lshl_b32 s2, s33, 6
	v_mbcnt_lo_u32_b32 v4, -1, 0
	v_and_b32_e32 v8, 7, v2
	v_cmp_lt_u32_e64 s[12:13], 5, v3
	v_lshlrev_b32_e32 v2, 2, v0
	v_mov_b32_e32 v3, v5
	s_add_u32 s48, s26, 0x800
	v_mbcnt_hi_u32_b32 v18, -1, v4
	v_mov_b32_e32 v4, 0x80
	v_cmp_eq_u32_e64 s[4:5], 0, v0
	v_cmp_ne_u32_e64 s[6:7], 0, v8
	v_or_b32_e32 v1, 0x80, v0
	v_cmp_ne_u32_e64 s[14:15], 0, v16
	v_lshl_add_u64 v[6:7], s[26:27], 0, v[2:3]
	s_mul_i32 s30, s3, s33
	v_lshlrev_b32_e32 v3, 2, v8
	s_addc_u32 s49, s27, 0
	s_mov_b64 s[34:35], 0x200
	s_mov_b64 s[36:37], 0x1000
	v_and_b32_e32 v19, 63, v18
	v_lshl_or_b32 v20, v18, 2, v4
	s_branch .LBB1_20
.LBB1_19:                               ;   in Loop: Header=BB1_20 Depth=1
	s_or_b64 exec, exec, s[40:41]
	s_add_i32 s3, s3, 64
	s_add_i32 s30, s30, s2
	s_cmp_ge_i32 s3, s29
	s_cbranch_scc1 .LBB1_55
.LBB1_20:                               ; =>This Loop Header: Depth=1
                                        ;     Child Loop BB1_23 Depth 2
                                        ;     Child Loop BB1_27 Depth 2
	;; [unrolled: 1-line block ×5, first 2 shown]
	s_ashr_i32 s31, s30, 31
	s_lshl_b64 s[38:39], s[30:31], 2
	v_mov_b32_e32 v10, 0
	s_and_saveexec_b64 s[40:41], s[18:19]
	s_cbranch_execz .LBB1_30
; %bb.21:                               ;   in Loop: Header=BB1_20 Depth=1
	v_mov_b32_e32 v10, 0
	v_mov_b32_e32 v4, v0
	s_and_saveexec_b64 s[42:43], s[6:7]
	s_cbranch_execz .LBB1_25
; %bb.22:                               ;   in Loop: Header=BB1_20 Depth=1
	v_lshl_add_u64 v[8:9], v[6:7], 0, s[38:39]
	v_mov_b32_e32 v10, 0
	s_mov_b64 s[44:45], 0
	v_mov_b32_e32 v11, v3
	v_mov_b32_e32 v12, v2
	;; [unrolled: 1-line block ×3, first 2 shown]
.LBB1_23:                               ;   Parent Loop BB1_20 Depth=1
                                        ; =>  This Inner Loop Header: Depth=2
	global_load_dword v13, v[8:9], off
	ds_read_b32 v21, v12
	v_add_u32_e32 v11, -4, v11
	v_cmp_eq_u32_e32 vcc, 0, v11
	v_add_u32_e32 v4, 0x80, v4
	v_add_u32_e32 v12, 0x200, v12
	v_lshl_add_u64 v[8:9], v[8:9], 0, s[34:35]
	s_or_b64 s[44:45], vcc, s[44:45]
	s_waitcnt vmcnt(0) lgkmcnt(0)
	v_fmac_f32_e32 v10, v21, v13
	s_andn2_b64 exec, exec, s[44:45]
	s_cbranch_execnz .LBB1_23
; %bb.24:                               ;   in Loop: Header=BB1_20 Depth=1
	s_or_b64 exec, exec, s[44:45]
.LBB1_25:                               ;   in Loop: Header=BB1_20 Depth=1
	s_or_b64 exec, exec, s[42:43]
	s_and_saveexec_b64 s[42:43], s[8:9]
	s_cbranch_execz .LBB1_29
; %bb.26:                               ;   in Loop: Header=BB1_20 Depth=1
	s_add_u32 s44, s48, s38
	s_addc_u32 s45, s49, s39
	v_lshlrev_b32_e32 v11, 2, v4
	v_lshl_add_u64 v[8:9], v[4:5], 2, s[44:45]
	s_mov_b64 s[44:45], 0
.LBB1_27:                               ;   Parent Loop BB1_20 Depth=1
                                        ; =>  This Inner Loop Header: Depth=2
	global_load_dword v21, v[8:9], off offset:-2048
	global_load_dword v28, v[8:9], off offset:-1536
	;; [unrolled: 1-line block ×4, first 2 shown]
	global_load_dword v31, v[8:9], off
	global_load_dword v32, v[8:9], off offset:512
	global_load_dword v33, v[8:9], off offset:1024
	;; [unrolled: 1-line block ×3, first 2 shown]
	ds_read2st64_b32 v[12:13], v11 offset1:2
	ds_read2st64_b32 v[22:23], v11 offset0:4 offset1:6
	ds_read2st64_b32 v[24:25], v11 offset0:8 offset1:10
	;; [unrolled: 1-line block ×3, first 2 shown]
	v_add_u32_e32 v4, 0x400, v4
	v_cmp_le_i32_e32 vcc, s28, v4
	v_add_u32_e32 v11, 0x1000, v11
	v_lshl_add_u64 v[8:9], v[8:9], 0, s[36:37]
	s_or_b64 s[44:45], vcc, s[44:45]
	s_waitcnt vmcnt(7) lgkmcnt(3)
	v_fmac_f32_e32 v10, v12, v21
	s_waitcnt vmcnt(6)
	v_fmac_f32_e32 v10, v13, v28
	s_waitcnt vmcnt(5) lgkmcnt(2)
	v_fmac_f32_e32 v10, v22, v29
	s_waitcnt vmcnt(4)
	v_fmac_f32_e32 v10, v23, v30
	;; [unrolled: 4-line block ×4, first 2 shown]
	s_andn2_b64 exec, exec, s[44:45]
	s_cbranch_execnz .LBB1_27
; %bb.28:                               ;   in Loop: Header=BB1_20 Depth=1
	s_or_b64 exec, exec, s[44:45]
.LBB1_29:                               ;   in Loop: Header=BB1_20 Depth=1
	s_or_b64 exec, exec, s[42:43]
.LBB1_30:                               ;   in Loop: Header=BB1_20 Depth=1
	s_or_b64 exec, exec, s[40:41]
	s_and_b64 vcc, exec, s[24:25]
	s_cbranch_vccz .LBB1_37
; %bb.31:                               ;   in Loop: Header=BB1_20 Depth=1
	v_cmp_ne_u32_e32 vcc, 63, v19
	s_nop 1
	v_addc_co_u32_e32 v4, vcc, 0, v18, vcc
	v_lshlrev_b32_e32 v4, 2, v4
	ds_bpermute_b32 v4, v4, v10
	v_cmp_gt_u32_e32 vcc, 62, v19
	s_waitcnt lgkmcnt(0)
	v_add_f32_e32 v4, v10, v4
	v_cndmask_b32_e64 v8, 0, 2, vcc
	v_add_lshl_u32 v8, v8, v18, 2
	ds_bpermute_b32 v8, v8, v4
	v_cmp_gt_u32_e32 vcc, 60, v19
	s_waitcnt lgkmcnt(0)
	v_add_f32_e32 v4, v4, v8
	v_cndmask_b32_e64 v9, 0, 4, vcc
	v_add_lshl_u32 v9, v9, v18, 2
	;; [unrolled: 6-line block ×4, first 2 shown]
	ds_bpermute_b32 v8, v8, v4
	s_waitcnt lgkmcnt(0)
	v_add_f32_e32 v4, v4, v8
	ds_bpermute_b32 v8, v20, v4
	s_waitcnt lgkmcnt(0)
	v_add_f32_e32 v8, v4, v8
	s_and_saveexec_b64 s[40:41], s[0:1]
; %bb.32:                               ;   in Loop: Header=BB1_20 Depth=1
	ds_write_b32 v14, v8 offset:8192
; %bb.33:                               ;   in Loop: Header=BB1_20 Depth=1
	s_or_b64 exec, exec, s[40:41]
	s_mov_b64 s[42:43], 0
	s_mov_b64 s[40:41], 0
	s_waitcnt lgkmcnt(0)
	s_barrier
                                        ; implicit-def: $vgpr4
	s_and_saveexec_b64 s[44:45], s[4:5]
	s_xor_b64 s[44:45], exec, s[44:45]
	s_cbranch_execz .LBB1_35
; %bb.34:                               ;   in Loop: Header=BB1_20 Depth=1
	ds_read_b32 v4, v5 offset:8196
	s_mov_b64 s[40:41], exec
	s_waitcnt lgkmcnt(0)
	v_add_f32_e32 v4, v8, v4
.LBB1_35:                               ;   in Loop: Header=BB1_20 Depth=1
	s_or_b64 exec, exec, s[44:45]
	s_and_b64 vcc, exec, s[42:43]
	s_cbranch_vccnz .LBB1_38
.LBB1_36:                               ;   in Loop: Header=BB1_20 Depth=1
	v_mov_b32_e32 v10, v4
	s_and_saveexec_b64 s[42:43], s[40:41]
	s_cbranch_execnz .LBB1_39
	s_branch .LBB1_40
.LBB1_37:                               ;   in Loop: Header=BB1_20 Depth=1
	s_mov_b64 s[40:41], 0
                                        ; implicit-def: $vgpr4
	s_cbranch_execz .LBB1_36
.LBB1_38:                               ;   in Loop: Header=BB1_20 Depth=1
	s_andn2_b64 s[40:41], s[40:41], exec
	s_and_b64 s[42:43], s[4:5], exec
	s_or_b64 s[40:41], s[40:41], s[42:43]
	s_and_saveexec_b64 s[42:43], s[40:41]
.LBB1_39:                               ;   in Loop: Header=BB1_20 Depth=1
	ds_write_b32 v5, v10 offset:8192
.LBB1_40:                               ;   in Loop: Header=BB1_20 Depth=1
	s_or_b64 exec, exec, s[42:43]
	s_waitcnt lgkmcnt(0)
	s_barrier
	s_and_saveexec_b64 s[40:41], s[18:19]
	s_cbranch_execz .LBB1_19
; %bb.41:                               ;   in Loop: Header=BB1_20 Depth=1
	global_load_dword v4, v5, s[22:23]
	ds_read_b32 v8, v5 offset:8192
	s_mov_b64 s[44:45], -1
	v_mov_b32_e32 v10, v0
	s_waitcnt vmcnt(0) lgkmcnt(0)
	v_mul_f32_e64 v8, v8, -v4
	v_mov_b32_e32 v4, v2
	s_and_saveexec_b64 s[42:43], s[10:11]
	s_cbranch_execz .LBB1_52
; %bb.42:                               ;   in Loop: Header=BB1_20 Depth=1
	s_mul_i32 s31, s3, s33
	v_mov_b32_e32 v9, v8
	v_mov_b32_e32 v13, 0
	v_mov_b64_e32 v[10:11], v[0:1]
	s_and_saveexec_b64 s[44:45], s[12:13]
	s_cbranch_execz .LBB1_46
; %bb.43:                               ;   in Loop: Header=BB1_20 Depth=1
	s_add_i32 s50, s31, 0x100
	s_add_i32 s52, s31, 0x200
	;; [unrolled: 1-line block ×3, first 2 shown]
	s_mov_b32 s51, s50
	s_mov_b32 s53, s52
	;; [unrolled: 1-line block ×4, first 2 shown]
	s_mov_b64 s[46:47], 0
	v_mov_b32_e32 v4, v17
	v_mov_b32_e32 v12, v2
	v_mov_b64_e32 v[10:11], v[0:1]
.LBB1_44:                               ;   Parent Loop BB1_20 Depth=1
                                        ; =>  This Inner Loop Header: Depth=2
	v_add_u32_e32 v22, s31, v10
	v_add_u32_e32 v24, s31, v11
	v_ashrrev_i32_e32 v23, 31, v22
	v_ashrrev_i32_e32 v25, 31, v24
	v_lshl_add_u64 v[22:23], v[22:23], 2, s[20:21]
	v_lshl_add_u64 v[24:25], v[24:25], 2, s[20:21]
	global_load_dword v26, v[22:23], off
	global_load_dword v27, v[24:25], off
	ds_read2st64_b32 v[28:29], v12 offset1:2
	v_add_u32_e32 v30, s50, v10
	v_add_u32_e32 v32, s51, v11
	v_ashrrev_i32_e32 v31, 31, v30
	v_ashrrev_i32_e32 v33, 31, v32
	v_lshl_add_u64 v[30:31], v[30:31], 2, s[20:21]
	v_lshl_add_u64 v[32:33], v[32:33], 2, s[20:21]
	v_add_u32_e32 v4, -4, v4
	s_add_i32 s56, s56, 8
	v_cmp_eq_u32_e32 vcc, 0, v4
	v_mov_b32_e32 v13, s56
	s_or_b64 s[46:47], vcc, s[46:47]
	s_waitcnt vmcnt(0) lgkmcnt(0)
	v_pk_fma_f32 v[26:27], v[8:9], v[28:29], v[26:27]
	global_store_dword v[22:23], v26, off
	global_store_dword v[24:25], v27, off
	global_load_dword v22, v[30:31], off
	s_nop 0
	global_load_dword v23, v[32:33], off
	ds_read2st64_b32 v[24:25], v12 offset0:4 offset1:6
	v_add_u32_e32 v26, s52, v10
	v_add_u32_e32 v28, s53, v11
	v_ashrrev_i32_e32 v27, 31, v26
	v_ashrrev_i32_e32 v29, 31, v28
	v_lshl_add_u64 v[26:27], v[26:27], 2, s[20:21]
	v_lshl_add_u64 v[28:29], v[28:29], 2, s[20:21]
	s_waitcnt vmcnt(0) lgkmcnt(0)
	v_pk_fma_f32 v[22:23], v[8:9], v[24:25], v[22:23]
	global_store_dword v[30:31], v22, off
	global_store_dword v[32:33], v23, off
	global_load_dword v22, v[26:27], off
	s_nop 0
	global_load_dword v23, v[28:29], off
	ds_read2st64_b32 v[24:25], v12 offset0:8 offset1:10
	v_add_u32_e32 v30, s54, v10
	v_add_u32_e32 v32, s55, v11
	v_ashrrev_i32_e32 v31, 31, v30
	v_ashrrev_i32_e32 v33, 31, v32
	v_lshl_add_u64 v[30:31], v[30:31], 2, s[20:21]
	v_lshl_add_u64 v[32:33], v[32:33], 2, s[20:21]
	v_add_u32_e32 v11, 0x400, v11
	v_add_u32_e32 v10, 0x400, v10
	s_waitcnt vmcnt(0) lgkmcnt(0)
	v_pk_fma_f32 v[22:23], v[8:9], v[24:25], v[22:23]
	global_store_dword v[26:27], v22, off
	global_store_dword v[28:29], v23, off
	global_load_dword v22, v[30:31], off
	s_nop 0
	global_load_dword v23, v[32:33], off
	ds_read2st64_b32 v[24:25], v12 offset0:12 offset1:14
	v_add_u32_e32 v12, 0x1000, v12
	s_waitcnt vmcnt(0) lgkmcnt(0)
	v_pk_fma_f32 v[22:23], v[8:9], v[24:25], v[22:23]
	global_store_dword v[30:31], v22, off
	global_store_dword v[32:33], v23, off
	s_andn2_b64 exec, exec, s[46:47]
	s_cbranch_execnz .LBB1_44
; %bb.45:                               ;   in Loop: Header=BB1_20 Depth=1
	s_or_b64 exec, exec, s[46:47]
.LBB1_46:                               ;   in Loop: Header=BB1_20 Depth=1
	s_or_b64 exec, exec, s[44:45]
	s_and_saveexec_b64 s[44:45], s[14:15]
	s_cbranch_execz .LBB1_49
; %bb.47:                               ;   in Loop: Header=BB1_20 Depth=1
	v_lshl_or_b32 v4, v13, 9, v2
	s_mov_b64 s[46:47], 0
	v_mov_b32_e32 v12, v16
.LBB1_48:                               ;   Parent Loop BB1_20 Depth=1
                                        ; =>  This Inner Loop Header: Depth=2
	v_add_u32_e32 v22, s31, v10
	v_add_u32_e32 v24, s31, v11
	v_ashrrev_i32_e32 v23, 31, v22
	v_ashrrev_i32_e32 v25, 31, v24
	v_lshl_add_u64 v[22:23], v[22:23], 2, s[20:21]
	v_lshl_add_u64 v[24:25], v[24:25], 2, s[20:21]
	global_load_dword v26, v[22:23], off
	global_load_dword v27, v[24:25], off
	ds_read2st64_b32 v[28:29], v4 offset1:2
	v_add_u32_e32 v12, -1, v12
	v_cmp_eq_u32_e32 vcc, 0, v12
	v_add_u32_e32 v11, 0x100, v11
	v_add_u32_e32 v10, 0x100, v10
	;; [unrolled: 1-line block ×3, first 2 shown]
	s_or_b64 s[46:47], vcc, s[46:47]
	s_waitcnt vmcnt(0) lgkmcnt(0)
	v_pk_fma_f32 v[26:27], v[8:9], v[28:29], v[26:27]
	global_store_dword v[22:23], v26, off
	global_store_dword v[24:25], v27, off
	s_andn2_b64 exec, exec, s[46:47]
	s_cbranch_execnz .LBB1_48
.LBB1_49:                               ;   in Loop: Header=BB1_20 Depth=1
	s_or_b64 exec, exec, s[44:45]
	s_mov_b64 s[44:45], 0
                                        ; implicit-def: $vgpr4
	s_and_saveexec_b64 s[46:47], s[16:17]
; %bb.50:                               ;   in Loop: Header=BB1_20 Depth=1
	s_mov_b64 s[44:45], exec
	v_lshlrev_b32_e32 v4, 2, v15
; %bb.51:                               ;   in Loop: Header=BB1_20 Depth=1
	s_or_b64 exec, exec, s[46:47]
	s_orn2_b64 s[44:45], s[44:45], exec
	v_mov_b32_e32 v10, v15
.LBB1_52:                               ;   in Loop: Header=BB1_20 Depth=1
	s_or_b64 exec, exec, s[42:43]
	s_and_b64 exec, exec, s[44:45]
	s_cbranch_execz .LBB1_19
; %bb.53:                               ;   in Loop: Header=BB1_20 Depth=1
	s_add_u32 s38, s26, s38
	v_ashrrev_i32_e32 v11, 31, v10
	s_addc_u32 s39, s27, s39
	v_lshl_add_u64 v[12:13], v[10:11], 2, s[38:39]
	s_mov_b64 s[38:39], 0
.LBB1_54:                               ;   Parent Loop BB1_20 Depth=1
                                        ; =>  This Inner Loop Header: Depth=2
	global_load_dword v9, v[12:13], off
	ds_read_b32 v11, v4
	v_add_u32_e32 v10, 0x80, v10
	v_cmp_le_i32_e32 vcc, s28, v10
	s_or_b64 s[38:39], vcc, s[38:39]
	v_add_u32_e32 v4, 0x200, v4
	s_waitcnt vmcnt(0) lgkmcnt(0)
	v_fmac_f32_e32 v9, v8, v11
	global_store_dword v[12:13], v9, off
	v_lshl_add_u64 v[12:13], v[12:13], 0, s[34:35]
	s_andn2_b64 exec, exec, s[38:39]
	s_cbranch_execnz .LBB1_54
	s_branch .LBB1_19
.LBB1_55:
	s_endpgm
	.section	.rodata,"a",@progbits
	.p2align	6, 0x0
	.amdhsa_kernel _ZN9rocsolver6v33100L22larf_left_kernel_smallILi128EfiPfEEvT1_S3_T2_lS3_lPKT0_lS4_lS3_l
		.amdhsa_group_segment_fixed_size 8704
		.amdhsa_private_segment_fixed_size 0
		.amdhsa_kernarg_size 88
		.amdhsa_user_sgpr_count 2
		.amdhsa_user_sgpr_dispatch_ptr 0
		.amdhsa_user_sgpr_queue_ptr 0
		.amdhsa_user_sgpr_kernarg_segment_ptr 1
		.amdhsa_user_sgpr_dispatch_id 0
		.amdhsa_user_sgpr_kernarg_preload_length 0
		.amdhsa_user_sgpr_kernarg_preload_offset 0
		.amdhsa_user_sgpr_private_segment_size 0
		.amdhsa_uses_dynamic_stack 0
		.amdhsa_enable_private_segment 0
		.amdhsa_system_sgpr_workgroup_id_x 1
		.amdhsa_system_sgpr_workgroup_id_y 1
		.amdhsa_system_sgpr_workgroup_id_z 0
		.amdhsa_system_sgpr_workgroup_info 0
		.amdhsa_system_vgpr_workitem_id 0
		.amdhsa_next_free_vgpr 35
		.amdhsa_next_free_sgpr 57
		.amdhsa_accum_offset 36
		.amdhsa_reserve_vcc 1
		.amdhsa_float_round_mode_32 0
		.amdhsa_float_round_mode_16_64 0
		.amdhsa_float_denorm_mode_32 3
		.amdhsa_float_denorm_mode_16_64 3
		.amdhsa_dx10_clamp 1
		.amdhsa_ieee_mode 1
		.amdhsa_fp16_overflow 0
		.amdhsa_tg_split 0
		.amdhsa_exception_fp_ieee_invalid_op 0
		.amdhsa_exception_fp_denorm_src 0
		.amdhsa_exception_fp_ieee_div_zero 0
		.amdhsa_exception_fp_ieee_overflow 0
		.amdhsa_exception_fp_ieee_underflow 0
		.amdhsa_exception_fp_ieee_inexact 0
		.amdhsa_exception_int_div_zero 0
	.end_amdhsa_kernel
	.section	.text._ZN9rocsolver6v33100L22larf_left_kernel_smallILi128EfiPfEEvT1_S3_T2_lS3_lPKT0_lS4_lS3_l,"axG",@progbits,_ZN9rocsolver6v33100L22larf_left_kernel_smallILi128EfiPfEEvT1_S3_T2_lS3_lPKT0_lS4_lS3_l,comdat
.Lfunc_end1:
	.size	_ZN9rocsolver6v33100L22larf_left_kernel_smallILi128EfiPfEEvT1_S3_T2_lS3_lPKT0_lS4_lS3_l, .Lfunc_end1-_ZN9rocsolver6v33100L22larf_left_kernel_smallILi128EfiPfEEvT1_S3_T2_lS3_lPKT0_lS4_lS3_l
                                        ; -- End function
	.set _ZN9rocsolver6v33100L22larf_left_kernel_smallILi128EfiPfEEvT1_S3_T2_lS3_lPKT0_lS4_lS3_l.num_vgpr, 35
	.set _ZN9rocsolver6v33100L22larf_left_kernel_smallILi128EfiPfEEvT1_S3_T2_lS3_lPKT0_lS4_lS3_l.num_agpr, 0
	.set _ZN9rocsolver6v33100L22larf_left_kernel_smallILi128EfiPfEEvT1_S3_T2_lS3_lPKT0_lS4_lS3_l.numbered_sgpr, 57
	.set _ZN9rocsolver6v33100L22larf_left_kernel_smallILi128EfiPfEEvT1_S3_T2_lS3_lPKT0_lS4_lS3_l.num_named_barrier, 0
	.set _ZN9rocsolver6v33100L22larf_left_kernel_smallILi128EfiPfEEvT1_S3_T2_lS3_lPKT0_lS4_lS3_l.private_seg_size, 0
	.set _ZN9rocsolver6v33100L22larf_left_kernel_smallILi128EfiPfEEvT1_S3_T2_lS3_lPKT0_lS4_lS3_l.uses_vcc, 1
	.set _ZN9rocsolver6v33100L22larf_left_kernel_smallILi128EfiPfEEvT1_S3_T2_lS3_lPKT0_lS4_lS3_l.uses_flat_scratch, 0
	.set _ZN9rocsolver6v33100L22larf_left_kernel_smallILi128EfiPfEEvT1_S3_T2_lS3_lPKT0_lS4_lS3_l.has_dyn_sized_stack, 0
	.set _ZN9rocsolver6v33100L22larf_left_kernel_smallILi128EfiPfEEvT1_S3_T2_lS3_lPKT0_lS4_lS3_l.has_recursion, 0
	.set _ZN9rocsolver6v33100L22larf_left_kernel_smallILi128EfiPfEEvT1_S3_T2_lS3_lPKT0_lS4_lS3_l.has_indirect_call, 0
	.section	.AMDGPU.csdata,"",@progbits
; Kernel info:
; codeLenInByte = 3096
; TotalNumSgprs: 63
; NumVgprs: 35
; NumAgprs: 0
; TotalNumVgprs: 35
; ScratchSize: 0
; MemoryBound: 0
; FloatMode: 240
; IeeeMode: 1
; LDSByteSize: 8704 bytes/workgroup (compile time only)
; SGPRBlocks: 7
; VGPRBlocks: 4
; NumSGPRsForWavesPerEU: 63
; NumVGPRsForWavesPerEU: 35
; AccumOffset: 36
; Occupancy: 8
; WaveLimiterHint : 1
; COMPUTE_PGM_RSRC2:SCRATCH_EN: 0
; COMPUTE_PGM_RSRC2:USER_SGPR: 2
; COMPUTE_PGM_RSRC2:TRAP_HANDLER: 0
; COMPUTE_PGM_RSRC2:TGID_X_EN: 1
; COMPUTE_PGM_RSRC2:TGID_Y_EN: 1
; COMPUTE_PGM_RSRC2:TGID_Z_EN: 0
; COMPUTE_PGM_RSRC2:TIDIG_COMP_CNT: 0
; COMPUTE_PGM_RSRC3_GFX90A:ACCUM_OFFSET: 8
; COMPUTE_PGM_RSRC3_GFX90A:TG_SPLIT: 0
	.section	.text._ZN9rocsolver6v33100L22larf_left_kernel_smallILi256EfiPfEEvT1_S3_T2_lS3_lPKT0_lS4_lS3_l,"axG",@progbits,_ZN9rocsolver6v33100L22larf_left_kernel_smallILi256EfiPfEEvT1_S3_T2_lS3_lPKT0_lS4_lS3_l,comdat
	.globl	_ZN9rocsolver6v33100L22larf_left_kernel_smallILi256EfiPfEEvT1_S3_T2_lS3_lPKT0_lS4_lS3_l ; -- Begin function _ZN9rocsolver6v33100L22larf_left_kernel_smallILi256EfiPfEEvT1_S3_T2_lS3_lPKT0_lS4_lS3_l
	.p2align	8
	.type	_ZN9rocsolver6v33100L22larf_left_kernel_smallILi256EfiPfEEvT1_S3_T2_lS3_lPKT0_lS4_lS3_l,@function
_ZN9rocsolver6v33100L22larf_left_kernel_smallILi256EfiPfEEvT1_S3_T2_lS3_lPKT0_lS4_lS3_l: ; @_ZN9rocsolver6v33100L22larf_left_kernel_smallILi256EfiPfEEvT1_S3_T2_lS3_lPKT0_lS4_lS3_l
; %bb.0:
	s_load_dwordx2 s[28:29], s[0:1], 0x0
	s_load_dwordx8 s[20:27], s[0:1], 0x20
	s_load_dwordx2 s[8:9], s[0:1], 0x40
	s_ashr_i32 s30, s2, 31
	s_waitcnt lgkmcnt(0)
	v_cmp_gt_i32_e64 s[18:19], s28, v0
	v_xad_u32 v4, v0, -1, s28
	s_and_saveexec_b64 s[10:11], s[18:19]
	s_cbranch_execz .LBB2_17
; %bb.1:
	s_load_dwordx4 s[4:7], s[0:1], 0x8
	s_load_dword s31, s[0:1], 0x18
	s_mul_i32 s12, s20, s30
	s_mul_hi_u32 s13, s20, s2
	s_add_i32 s12, s13, s12
	s_mul_i32 s13, s21, s2
	s_add_i32 s13, s12, s13
	s_mul_i32 s12, s20, s2
	s_lshl_b64 s[12:13], s[12:13], 2
	s_waitcnt lgkmcnt(0)
	s_add_u32 s12, s4, s12
	s_addc_u32 s13, s5, s13
	s_lshl_b64 s[4:5], s[6:7], 2
	s_add_u32 s12, s12, s4
	s_addc_u32 s13, s13, s5
	s_sub_i32 s4, 1, s28
	s_mul_i32 s4, s31, s4
	s_cmp_lt_i32 s31, 1
	s_cselect_b32 s20, s4, 0
	s_movk_i32 s4, 0x16ff
	v_cmp_lt_u32_e32 vcc, s4, v4
	s_mov_b64 s[4:5], 0
                                        ; implicit-def: $vgpr1
                                        ; implicit-def: $vgpr5
	s_and_saveexec_b64 s[6:7], vcc
	s_xor_b64 s[14:15], exec, s[6:7]
	s_cbranch_execnz .LBB2_4
; %bb.2:
	s_andn2_saveexec_b64 s[6:7], s[14:15]
	s_cbranch_execnz .LBB2_14
.LBB2_3:
	s_or_b64 exec, exec, s[6:7]
	s_and_b64 exec, exec, s[4:5]
	s_cbranch_execnz .LBB2_15
	s_branch .LBB2_17
.LBB2_4:
	s_lshl_b32 s21, s31, 8
	s_sub_i32 s6, 0, s21
	s_cmp_lt_i32 s21, 0
	s_cselect_b64 vcc, -1, 0
	s_and_b64 s[4:5], vcc, exec
	v_lshrrev_b32_e32 v5, 8, v4
	s_cselect_b32 s6, s6, s21
	v_mul_lo_u32 v1, v0, s31
	v_mul_hi_u32 v2, s6, v5
	v_add_u32_e32 v1, s20, v1
	v_cmp_eq_u32_e64 s[4:5], 0, v2
	v_mul_lo_u32 v2, s6, v5
	v_add_u32_e32 v3, v1, v2
	v_sub_u32_e32 v2, v1, v2
	v_cmp_gt_i32_e64 s[6:7], v2, v1
	s_nop 1
	v_cndmask_b32_e64 v2, 0, 1, s[6:7]
	v_cmp_lt_i32_e64 s[6:7], v3, v1
	s_nop 1
	v_cndmask_b32_e64 v1, 0, 1, s[6:7]
	v_cndmask_b32_e32 v1, v1, v2, vcc
	v_and_b32_e32 v1, 1, v1
	v_cmp_eq_u32_e32 vcc, 1, v1
	s_xor_b64 s[16:17], vcc, -1
	s_mov_b64 s[6:7], -1
	s_and_b64 s[16:17], s[16:17], s[4:5]
	v_mov_b32_e32 v1, v0
	s_and_saveexec_b64 s[4:5], s[16:17]
	s_cbranch_execz .LBB2_13
; %bb.5:
	v_add_u32_e32 v2, -1, v5
	v_or_b32_e32 v1, 0x100, v0
	v_lshrrev_b32_e32 v3, 1, v2
	s_mov_b32 s33, 0
	v_add_u32_e32 v6, 1, v3
	v_cmp_lt_u32_e32 vcc, 5, v2
	v_mov_b32_e32 v9, 0
	v_mov_b64_e32 v[2:3], v[0:1]
	s_and_saveexec_b64 s[6:7], vcc
	s_cbranch_execz .LBB2_9
; %bb.6:
	v_and_b32_e32 v7, -4, v6
	v_lshlrev_b32_e32 v8, 2, v0
	s_mov_b64 s[16:17], 0
	v_mov_b64_e32 v[2:3], v[0:1]
.LBB2_7:                                ; =>This Inner Loop Header: Depth=1
	v_mul_lo_u32 v1, v3, s31
	v_mul_lo_u32 v9, v2, s31
	v_add_u32_e32 v11, 0x200, v2
	v_add_u32_e32 v13, 0x200, v3
	;; [unrolled: 1-line block ×8, first 2 shown]
	v_mul_lo_u32 v1, v13, s31
	v_mul_lo_u32 v9, v11, s31
	v_mul_lo_u32 v15, v15, s31
	v_mul_lo_u32 v18, v14, s31
	v_mul_lo_u32 v17, v17, s31
	v_mul_lo_u32 v19, v16, s31
	v_ashrrev_i32_e32 v11, 31, v10
	v_add_u32_e32 v14, s20, v9
	v_add_u32_e32 v16, s20, v1
	;; [unrolled: 1-line block ×6, first 2 shown]
	v_ashrrev_i32_e32 v13, 31, v12
	v_lshl_add_u64 v[10:11], v[10:11], 2, s[12:13]
	v_ashrrev_i32_e32 v17, 31, v16
	v_ashrrev_i32_e32 v15, 31, v14
	;; [unrolled: 1-line block ×6, first 2 shown]
	v_lshl_add_u64 v[12:13], v[12:13], 2, s[12:13]
	v_lshl_add_u64 v[14:15], v[14:15], 2, s[12:13]
	;; [unrolled: 1-line block ×7, first 2 shown]
	global_load_dword v1, v[10:11], off
	global_load_dword v26, v[12:13], off
	;; [unrolled: 1-line block ×8, first 2 shown]
	v_add_u32_e32 v7, -4, v7
	s_add_i32 s33, s33, 8
	v_cmp_eq_u32_e32 vcc, 0, v7
	v_add_u32_e32 v3, 0x800, v3
	v_add_u32_e32 v2, 0x800, v2
	v_mov_b32_e32 v9, s33
	s_or_b64 s[16:17], vcc, s[16:17]
	s_waitcnt vmcnt(6)
	ds_write2st64_b32 v8, v1, v26 offset1:4
	s_waitcnt vmcnt(4)
	ds_write2st64_b32 v8, v27, v28 offset0:8 offset1:12
	s_waitcnt vmcnt(2)
	ds_write2st64_b32 v8, v29, v30 offset0:16 offset1:20
	;; [unrolled: 2-line block ×3, first 2 shown]
	v_add_u32_e32 v8, 0x2000, v8
	s_andn2_b64 exec, exec, s[16:17]
	s_cbranch_execnz .LBB2_7
; %bb.8:
	s_or_b64 exec, exec, s[16:17]
.LBB2_9:
	s_or_b64 exec, exec, s[6:7]
	v_and_b32_e32 v1, 3, v6
	v_cmp_ne_u32_e32 vcc, 0, v1
	s_and_saveexec_b64 s[6:7], vcc
	s_cbranch_execz .LBB2_12
; %bb.10:
	v_lshlrev_b32_e32 v6, 2, v0
	v_lshl_or_b32 v6, v9, 10, v6
	s_mov_b64 s[16:17], 0
.LBB2_11:                               ; =>This Inner Loop Header: Depth=1
	v_mul_lo_u32 v8, v2, s31
	v_mul_lo_u32 v7, v3, s31
	v_add_u32_e32 v8, s20, v8
	v_add_u32_e32 v10, s20, v7
	v_ashrrev_i32_e32 v9, 31, v8
	v_ashrrev_i32_e32 v11, 31, v10
	v_lshl_add_u64 v[8:9], v[8:9], 2, s[12:13]
	v_lshl_add_u64 v[10:11], v[10:11], 2, s[12:13]
	global_load_dword v7, v[8:9], off
	global_load_dword v12, v[10:11], off
	v_add_u32_e32 v1, -1, v1
	v_cmp_eq_u32_e32 vcc, 0, v1
	v_add_u32_e32 v3, 0x200, v3
	v_add_u32_e32 v2, 0x200, v2
	s_or_b64 s[16:17], vcc, s[16:17]
	s_waitcnt vmcnt(0)
	ds_write2st64_b32 v6, v7, v12 offset1:4
	v_add_u32_e32 v6, 0x800, v6
	s_andn2_b64 exec, exec, s[16:17]
	s_cbranch_execnz .LBB2_11
.LBB2_12:
	s_or_b64 exec, exec, s[6:7]
	v_add_u32_e32 v2, 1, v5
	v_and_b32_e32 v3, 0x1fffffe, v2
	v_cmp_ne_u32_e32 vcc, v2, v3
	v_lshl_or_b32 v1, v3, 8, v0
	s_orn2_b64 s[6:7], vcc, exec
.LBB2_13:
	s_or_b64 exec, exec, s[4:5]
	v_mov_b32_e32 v5, s21
	s_and_b64 s[4:5], s[6:7], exec
	s_andn2_saveexec_b64 s[6:7], s[14:15]
	s_cbranch_execz .LBB2_3
.LBB2_14:
	s_lshl_b32 s14, s31, 8
	v_mov_b32_e32 v5, s14
	s_or_b64 s[4:5], s[4:5], exec
	v_mov_b32_e32 v1, v0
	s_or_b64 exec, exec, s[6:7]
	s_and_b64 exec, exec, s[4:5]
	s_cbranch_execz .LBB2_17
.LBB2_15:
	v_mul_lo_u32 v2, v1, s31
	v_add_u32_e32 v2, s20, v2
	v_lshlrev_b32_e32 v6, 2, v1
	s_mov_b64 s[4:5], 0
.LBB2_16:                               ; =>This Inner Loop Header: Depth=1
	v_ashrrev_i32_e32 v3, 31, v2
	v_lshl_add_u64 v[8:9], v[2:3], 2, s[12:13]
	global_load_dword v3, v[8:9], off
	v_add_u32_e32 v1, 0x100, v1
	v_cmp_le_i32_e32 vcc, s28, v1
	v_add_u32_e32 v2, v2, v5
	s_or_b64 s[4:5], vcc, s[4:5]
	s_waitcnt vmcnt(0)
	ds_write_b32 v6, v3
	v_add_u32_e32 v6, 0x400, v6
	s_andn2_b64 exec, exec, s[4:5]
	s_cbranch_execnz .LBB2_16
.LBB2_17:
	s_or_b64 exec, exec, s[10:11]
	s_cmp_ge_i32 s3, s29
	s_waitcnt lgkmcnt(0)
	s_barrier
	s_cbranch_scc1 .LBB2_55
; %bb.18:
	s_load_dwordx2 s[4:5], s[0:1], 0x50
	s_load_dword s33, s[0:1], 0x48
	v_and_b32_e32 v1, 63, v0
	v_lshrrev_b32_e32 v14, 4, v0
	v_mov_b32_e32 v18, 0x2004
	s_waitcnt lgkmcnt(0)
	s_mul_i32 s1, s4, s30
	s_mul_hi_u32 s6, s4, s2
	s_mul_i32 s5, s5, s2
	s_add_i32 s1, s6, s1
	s_mul_i32 s0, s4, s2
	s_add_i32 s1, s1, s5
	s_lshl_b64 s[34:35], s[0:1], 2
	s_add_u32 s0, s26, s34
	s_addc_u32 s1, s27, s35
	s_lshl_b64 s[36:37], s[8:9], 2
	s_add_u32 s20, s0, s36
	s_addc_u32 s21, s1, s37
	s_mul_i32 s0, s24, s30
	s_mul_hi_u32 s1, s24, s2
	s_add_i32 s0, s1, s0
	s_mul_i32 s1, s25, s2
	s_add_i32 s1, s0, s1
	s_mul_i32 s0, s24, s2
	s_lshl_b64 s[0:1], s[0:1], 2
	s_add_u32 s22, s22, s0
	s_addc_u32 s23, s23, s1
	s_movk_i32 s2, 0x6ff
	s_cmp_gt_i32 s28, 1
	v_cmp_eq_u32_e64 s[0:1], 0, v1
	v_lshrrev_b32_e32 v1, 8, v4
	v_cmp_lt_u32_e64 s[8:9], s2, v4
	s_movk_i32 s2, 0xff
	s_cselect_b64 s[24:25], -1, 0
	v_add_u32_e32 v3, -1, v1
	v_cmp_lt_u32_e64 s[10:11], s2, v4
	s_add_u32 s2, s34, s36
	v_add_u32_e32 v2, 1, v1
	v_lshrrev_b32_e32 v1, 1, v3
	s_addc_u32 s30, s35, s37
	v_add_u32_e32 v5, 1, v1
	v_and_b32_e32 v4, 0x1fffffe, v2
	s_add_u32 s26, s26, s2
	v_lshl_or_b32 v15, v4, 8, v0
	v_and_b32_e32 v16, 3, v5
	v_and_b32_e32 v17, -4, v5
	v_cmp_ne_u32_e64 s[16:17], v2, v4
	v_mov_b32_e32 v5, 0
	s_addc_u32 s27, s27, s30
	s_lshl_b32 s2, s33, 6
	v_mbcnt_lo_u32_b32 v4, -1, 0
	v_and_b32_e32 v8, 7, v2
	v_cmp_lt_u32_e64 s[12:13], 5, v3
	v_lshlrev_b32_e32 v2, 2, v0
	v_mov_b32_e32 v3, v5
	s_add_u32 s48, s26, 0x1c00
	v_mbcnt_hi_u32_b32 v19, -1, v4
	v_mov_b32_e32 v4, 0x80
	v_cmp_eq_u32_e64 s[4:5], 0, v0
	v_cmp_ne_u32_e64 s[6:7], 0, v8
	v_or_b32_e32 v1, 0x100, v0
	v_cmp_ne_u32_e64 s[14:15], 0, v16
	v_lshl_add_u64 v[6:7], s[26:27], 0, v[2:3]
	s_mul_i32 s30, s3, s33
	v_lshlrev_b32_e32 v3, 2, v8
	s_addc_u32 s49, s27, 0
	s_mov_b64 s[34:35], 0x400
	s_mov_b64 s[36:37], 0x2000
	v_and_b32_e32 v20, 63, v19
	v_lshl_or_b32 v21, v19, 2, v4
	s_branch .LBB2_20
.LBB2_19:                               ;   in Loop: Header=BB2_20 Depth=1
	s_or_b64 exec, exec, s[40:41]
	s_add_i32 s3, s3, 64
	s_add_i32 s30, s30, s2
	s_cmp_ge_i32 s3, s29
	s_cbranch_scc1 .LBB2_55
.LBB2_20:                               ; =>This Loop Header: Depth=1
                                        ;     Child Loop BB2_23 Depth 2
                                        ;     Child Loop BB2_27 Depth 2
                                        ;     Child Loop BB2_44 Depth 2
                                        ;     Child Loop BB2_48 Depth 2
                                        ;     Child Loop BB2_54 Depth 2
	s_ashr_i32 s31, s30, 31
	s_lshl_b64 s[38:39], s[30:31], 2
	v_mov_b32_e32 v10, 0
	s_and_saveexec_b64 s[40:41], s[18:19]
	s_cbranch_execz .LBB2_30
; %bb.21:                               ;   in Loop: Header=BB2_20 Depth=1
	v_mov_b32_e32 v10, 0
	v_mov_b32_e32 v4, v0
	s_and_saveexec_b64 s[42:43], s[6:7]
	s_cbranch_execz .LBB2_25
; %bb.22:                               ;   in Loop: Header=BB2_20 Depth=1
	v_lshl_add_u64 v[8:9], v[6:7], 0, s[38:39]
	v_mov_b32_e32 v10, 0
	s_mov_b64 s[44:45], 0
	v_mov_b32_e32 v11, v3
	v_mov_b32_e32 v12, v2
	;; [unrolled: 1-line block ×3, first 2 shown]
.LBB2_23:                               ;   Parent Loop BB2_20 Depth=1
                                        ; =>  This Inner Loop Header: Depth=2
	global_load_dword v13, v[8:9], off
	ds_read_b32 v22, v12
	v_add_u32_e32 v11, -4, v11
	v_cmp_eq_u32_e32 vcc, 0, v11
	v_add_u32_e32 v4, 0x100, v4
	v_add_u32_e32 v12, 0x400, v12
	v_lshl_add_u64 v[8:9], v[8:9], 0, s[34:35]
	s_or_b64 s[44:45], vcc, s[44:45]
	s_waitcnt vmcnt(0) lgkmcnt(0)
	v_fmac_f32_e32 v10, v22, v13
	s_andn2_b64 exec, exec, s[44:45]
	s_cbranch_execnz .LBB2_23
; %bb.24:                               ;   in Loop: Header=BB2_20 Depth=1
	s_or_b64 exec, exec, s[44:45]
.LBB2_25:                               ;   in Loop: Header=BB2_20 Depth=1
	s_or_b64 exec, exec, s[42:43]
	s_and_saveexec_b64 s[42:43], s[8:9]
	s_cbranch_execz .LBB2_29
; %bb.26:                               ;   in Loop: Header=BB2_20 Depth=1
	s_add_u32 s44, s48, s38
	s_addc_u32 s45, s49, s39
	v_lshl_add_u64 v[8:9], v[4:5], 2, s[44:45]
	v_lshlrev_b32_e32 v11, 2, v4
	s_mov_b64 s[44:45], 0
.LBB2_27:                               ;   Parent Loop BB2_20 Depth=1
                                        ; =>  This Inner Loop Header: Depth=2
	v_add_co_u32_e32 v12, vcc, 0xfffff000, v8
	v_add_u32_e32 v4, 0x800, v4
	s_nop 0
	v_addc_co_u32_e32 v13, vcc, -1, v9, vcc
	global_load_dword v28, v[12:13], off offset:-3072
	global_load_dword v29, v[12:13], off offset:-2048
	;; [unrolled: 1-line block ×7, first 2 shown]
	global_load_dword v35, v[8:9], off
	ds_read2st64_b32 v[12:13], v11 offset1:4
	ds_read2st64_b32 v[22:23], v11 offset0:8 offset1:12
	ds_read2st64_b32 v[24:25], v11 offset0:16 offset1:20
	;; [unrolled: 1-line block ×3, first 2 shown]
	v_cmp_le_i32_e32 vcc, s28, v4
	v_add_u32_e32 v11, 0x2000, v11
	v_lshl_add_u64 v[8:9], v[8:9], 0, s[36:37]
	s_or_b64 s[44:45], vcc, s[44:45]
	s_waitcnt vmcnt(7) lgkmcnt(3)
	v_fmac_f32_e32 v10, v12, v28
	s_waitcnt vmcnt(6)
	v_fmac_f32_e32 v10, v13, v29
	s_waitcnt vmcnt(5) lgkmcnt(2)
	v_fmac_f32_e32 v10, v22, v30
	s_waitcnt vmcnt(4)
	v_fmac_f32_e32 v10, v23, v31
	;; [unrolled: 4-line block ×4, first 2 shown]
	s_andn2_b64 exec, exec, s[44:45]
	s_cbranch_execnz .LBB2_27
; %bb.28:                               ;   in Loop: Header=BB2_20 Depth=1
	s_or_b64 exec, exec, s[44:45]
.LBB2_29:                               ;   in Loop: Header=BB2_20 Depth=1
	s_or_b64 exec, exec, s[42:43]
.LBB2_30:                               ;   in Loop: Header=BB2_20 Depth=1
	s_or_b64 exec, exec, s[40:41]
	s_and_b64 vcc, exec, s[24:25]
	s_cbranch_vccz .LBB2_37
; %bb.31:                               ;   in Loop: Header=BB2_20 Depth=1
	v_cmp_ne_u32_e32 vcc, 63, v20
	s_nop 1
	v_addc_co_u32_e32 v4, vcc, 0, v19, vcc
	v_lshlrev_b32_e32 v4, 2, v4
	ds_bpermute_b32 v4, v4, v10
	v_cmp_gt_u32_e32 vcc, 62, v20
	s_waitcnt lgkmcnt(0)
	v_add_f32_e32 v4, v10, v4
	v_cndmask_b32_e64 v8, 0, 2, vcc
	v_add_lshl_u32 v8, v8, v19, 2
	ds_bpermute_b32 v8, v8, v4
	v_cmp_gt_u32_e32 vcc, 60, v20
	s_waitcnt lgkmcnt(0)
	v_add_f32_e32 v4, v4, v8
	v_cndmask_b32_e64 v9, 0, 4, vcc
	v_add_lshl_u32 v9, v9, v19, 2
	;; [unrolled: 6-line block ×4, first 2 shown]
	ds_bpermute_b32 v8, v8, v4
	s_waitcnt lgkmcnt(0)
	v_add_f32_e32 v4, v4, v8
	ds_bpermute_b32 v8, v21, v4
	s_waitcnt lgkmcnt(0)
	v_add_f32_e32 v8, v4, v8
	s_and_saveexec_b64 s[40:41], s[0:1]
; %bb.32:                               ;   in Loop: Header=BB2_20 Depth=1
	ds_write_b32 v14, v8 offset:8192
; %bb.33:                               ;   in Loop: Header=BB2_20 Depth=1
	s_or_b64 exec, exec, s[40:41]
	s_mov_b64 s[42:43], 0
	s_mov_b64 s[40:41], 0
	s_waitcnt lgkmcnt(0)
	s_barrier
                                        ; implicit-def: $vgpr4
	s_and_saveexec_b64 s[44:45], s[4:5]
	s_xor_b64 s[44:45], exec, s[44:45]
	s_cbranch_execz .LBB2_35
; %bb.34:                               ;   in Loop: Header=BB2_20 Depth=1
	ds_read2_b32 v[12:13], v18 offset1:1
	ds_read_b32 v4, v5 offset:8204
	s_mov_b64 s[40:41], exec
	s_waitcnt lgkmcnt(1)
	v_add_f32_e32 v8, v8, v12
	v_add_f32_e32 v8, v8, v13
	s_waitcnt lgkmcnt(0)
	v_add_f32_e32 v4, v8, v4
.LBB2_35:                               ;   in Loop: Header=BB2_20 Depth=1
	s_or_b64 exec, exec, s[44:45]
	s_and_b64 vcc, exec, s[42:43]
	s_cbranch_vccnz .LBB2_38
.LBB2_36:                               ;   in Loop: Header=BB2_20 Depth=1
	v_mov_b32_e32 v10, v4
	s_and_saveexec_b64 s[42:43], s[40:41]
	s_cbranch_execnz .LBB2_39
	s_branch .LBB2_40
.LBB2_37:                               ;   in Loop: Header=BB2_20 Depth=1
	s_mov_b64 s[40:41], 0
                                        ; implicit-def: $vgpr4
	s_cbranch_execz .LBB2_36
.LBB2_38:                               ;   in Loop: Header=BB2_20 Depth=1
	s_andn2_b64 s[40:41], s[40:41], exec
	s_and_b64 s[42:43], s[4:5], exec
	s_or_b64 s[40:41], s[40:41], s[42:43]
	s_and_saveexec_b64 s[42:43], s[40:41]
.LBB2_39:                               ;   in Loop: Header=BB2_20 Depth=1
	ds_write_b32 v5, v10 offset:8192
.LBB2_40:                               ;   in Loop: Header=BB2_20 Depth=1
	s_or_b64 exec, exec, s[42:43]
	s_waitcnt lgkmcnt(0)
	s_barrier
	s_and_saveexec_b64 s[40:41], s[18:19]
	s_cbranch_execz .LBB2_19
; %bb.41:                               ;   in Loop: Header=BB2_20 Depth=1
	global_load_dword v4, v5, s[22:23]
	ds_read_b32 v8, v5 offset:8192
	s_mov_b64 s[44:45], -1
	v_mov_b32_e32 v10, v0
	s_waitcnt vmcnt(0) lgkmcnt(0)
	v_mul_f32_e64 v8, v8, -v4
	v_mov_b32_e32 v4, v2
	s_and_saveexec_b64 s[42:43], s[10:11]
	s_cbranch_execz .LBB2_52
; %bb.42:                               ;   in Loop: Header=BB2_20 Depth=1
	s_mul_i32 s31, s3, s33
	v_mov_b32_e32 v9, v8
	v_mov_b32_e32 v13, 0
	v_mov_b64_e32 v[10:11], v[0:1]
	s_and_saveexec_b64 s[44:45], s[12:13]
	s_cbranch_execz .LBB2_46
; %bb.43:                               ;   in Loop: Header=BB2_20 Depth=1
	s_add_i32 s50, s31, 0x200
	s_add_i32 s52, s31, 0x400
	;; [unrolled: 1-line block ×3, first 2 shown]
	s_mov_b32 s51, s50
	s_mov_b32 s53, s52
	;; [unrolled: 1-line block ×4, first 2 shown]
	s_mov_b64 s[46:47], 0
	v_mov_b32_e32 v4, v17
	v_mov_b32_e32 v12, v2
	v_mov_b64_e32 v[10:11], v[0:1]
.LBB2_44:                               ;   Parent Loop BB2_20 Depth=1
                                        ; =>  This Inner Loop Header: Depth=2
	v_add_u32_e32 v22, s31, v10
	v_add_u32_e32 v24, s31, v11
	v_ashrrev_i32_e32 v23, 31, v22
	v_ashrrev_i32_e32 v25, 31, v24
	v_lshl_add_u64 v[22:23], v[22:23], 2, s[20:21]
	v_lshl_add_u64 v[24:25], v[24:25], 2, s[20:21]
	global_load_dword v26, v[22:23], off
	global_load_dword v27, v[24:25], off
	ds_read2st64_b32 v[28:29], v12 offset1:4
	v_add_u32_e32 v30, s50, v10
	v_add_u32_e32 v32, s51, v11
	v_ashrrev_i32_e32 v31, 31, v30
	v_ashrrev_i32_e32 v33, 31, v32
	v_lshl_add_u64 v[30:31], v[30:31], 2, s[20:21]
	v_lshl_add_u64 v[32:33], v[32:33], 2, s[20:21]
	v_add_u32_e32 v4, -4, v4
	s_add_i32 s56, s56, 8
	v_cmp_eq_u32_e32 vcc, 0, v4
	v_mov_b32_e32 v13, s56
	s_or_b64 s[46:47], vcc, s[46:47]
	s_waitcnt vmcnt(0) lgkmcnt(0)
	v_pk_fma_f32 v[26:27], v[8:9], v[28:29], v[26:27]
	global_store_dword v[22:23], v26, off
	global_store_dword v[24:25], v27, off
	global_load_dword v22, v[30:31], off
	s_nop 0
	global_load_dword v23, v[32:33], off
	ds_read2st64_b32 v[24:25], v12 offset0:8 offset1:12
	v_add_u32_e32 v26, s52, v10
	v_add_u32_e32 v28, s53, v11
	v_ashrrev_i32_e32 v27, 31, v26
	v_ashrrev_i32_e32 v29, 31, v28
	v_lshl_add_u64 v[26:27], v[26:27], 2, s[20:21]
	v_lshl_add_u64 v[28:29], v[28:29], 2, s[20:21]
	s_waitcnt vmcnt(0) lgkmcnt(0)
	v_pk_fma_f32 v[22:23], v[8:9], v[24:25], v[22:23]
	global_store_dword v[30:31], v22, off
	global_store_dword v[32:33], v23, off
	global_load_dword v22, v[26:27], off
	s_nop 0
	global_load_dword v23, v[28:29], off
	ds_read2st64_b32 v[24:25], v12 offset0:16 offset1:20
	v_add_u32_e32 v30, s54, v10
	v_add_u32_e32 v32, s55, v11
	v_ashrrev_i32_e32 v31, 31, v30
	v_ashrrev_i32_e32 v33, 31, v32
	v_lshl_add_u64 v[30:31], v[30:31], 2, s[20:21]
	v_lshl_add_u64 v[32:33], v[32:33], 2, s[20:21]
	v_add_u32_e32 v11, 0x800, v11
	v_add_u32_e32 v10, 0x800, v10
	s_waitcnt vmcnt(0) lgkmcnt(0)
	v_pk_fma_f32 v[22:23], v[8:9], v[24:25], v[22:23]
	global_store_dword v[26:27], v22, off
	global_store_dword v[28:29], v23, off
	global_load_dword v22, v[30:31], off
	s_nop 0
	global_load_dword v23, v[32:33], off
	ds_read2st64_b32 v[24:25], v12 offset0:24 offset1:28
	v_add_u32_e32 v12, 0x2000, v12
	s_waitcnt vmcnt(0) lgkmcnt(0)
	v_pk_fma_f32 v[22:23], v[8:9], v[24:25], v[22:23]
	global_store_dword v[30:31], v22, off
	global_store_dword v[32:33], v23, off
	s_andn2_b64 exec, exec, s[46:47]
	s_cbranch_execnz .LBB2_44
; %bb.45:                               ;   in Loop: Header=BB2_20 Depth=1
	s_or_b64 exec, exec, s[46:47]
.LBB2_46:                               ;   in Loop: Header=BB2_20 Depth=1
	s_or_b64 exec, exec, s[44:45]
	s_and_saveexec_b64 s[44:45], s[14:15]
	s_cbranch_execz .LBB2_49
; %bb.47:                               ;   in Loop: Header=BB2_20 Depth=1
	v_lshl_or_b32 v4, v13, 10, v2
	s_mov_b64 s[46:47], 0
	v_mov_b32_e32 v12, v16
.LBB2_48:                               ;   Parent Loop BB2_20 Depth=1
                                        ; =>  This Inner Loop Header: Depth=2
	v_add_u32_e32 v22, s31, v10
	v_add_u32_e32 v24, s31, v11
	v_ashrrev_i32_e32 v23, 31, v22
	v_ashrrev_i32_e32 v25, 31, v24
	v_lshl_add_u64 v[22:23], v[22:23], 2, s[20:21]
	v_lshl_add_u64 v[24:25], v[24:25], 2, s[20:21]
	global_load_dword v26, v[22:23], off
	global_load_dword v27, v[24:25], off
	ds_read2st64_b32 v[28:29], v4 offset1:4
	v_add_u32_e32 v12, -1, v12
	v_cmp_eq_u32_e32 vcc, 0, v12
	v_add_u32_e32 v11, 0x200, v11
	v_add_u32_e32 v10, 0x200, v10
	v_add_u32_e32 v4, 0x800, v4
	s_or_b64 s[46:47], vcc, s[46:47]
	s_waitcnt vmcnt(0) lgkmcnt(0)
	v_pk_fma_f32 v[26:27], v[8:9], v[28:29], v[26:27]
	global_store_dword v[22:23], v26, off
	global_store_dword v[24:25], v27, off
	s_andn2_b64 exec, exec, s[46:47]
	s_cbranch_execnz .LBB2_48
.LBB2_49:                               ;   in Loop: Header=BB2_20 Depth=1
	s_or_b64 exec, exec, s[44:45]
	s_mov_b64 s[44:45], 0
                                        ; implicit-def: $vgpr4
	s_and_saveexec_b64 s[46:47], s[16:17]
; %bb.50:                               ;   in Loop: Header=BB2_20 Depth=1
	s_mov_b64 s[44:45], exec
	v_lshlrev_b32_e32 v4, 2, v15
; %bb.51:                               ;   in Loop: Header=BB2_20 Depth=1
	s_or_b64 exec, exec, s[46:47]
	s_orn2_b64 s[44:45], s[44:45], exec
	v_mov_b32_e32 v10, v15
.LBB2_52:                               ;   in Loop: Header=BB2_20 Depth=1
	s_or_b64 exec, exec, s[42:43]
	s_and_b64 exec, exec, s[44:45]
	s_cbranch_execz .LBB2_19
; %bb.53:                               ;   in Loop: Header=BB2_20 Depth=1
	s_add_u32 s38, s26, s38
	v_ashrrev_i32_e32 v11, 31, v10
	s_addc_u32 s39, s27, s39
	v_lshl_add_u64 v[12:13], v[10:11], 2, s[38:39]
	s_mov_b64 s[38:39], 0
.LBB2_54:                               ;   Parent Loop BB2_20 Depth=1
                                        ; =>  This Inner Loop Header: Depth=2
	global_load_dword v9, v[12:13], off
	ds_read_b32 v11, v4
	v_add_u32_e32 v10, 0x100, v10
	v_cmp_le_i32_e32 vcc, s28, v10
	s_or_b64 s[38:39], vcc, s[38:39]
	v_add_u32_e32 v4, 0x400, v4
	s_waitcnt vmcnt(0) lgkmcnt(0)
	v_fmac_f32_e32 v9, v8, v11
	global_store_dword v[12:13], v9, off
	v_lshl_add_u64 v[12:13], v[12:13], 0, s[34:35]
	s_andn2_b64 exec, exec, s[38:39]
	s_cbranch_execnz .LBB2_54
	s_branch .LBB2_19
.LBB2_55:
	s_endpgm
	.section	.rodata,"a",@progbits
	.p2align	6, 0x0
	.amdhsa_kernel _ZN9rocsolver6v33100L22larf_left_kernel_smallILi256EfiPfEEvT1_S3_T2_lS3_lPKT0_lS4_lS3_l
		.amdhsa_group_segment_fixed_size 9216
		.amdhsa_private_segment_fixed_size 0
		.amdhsa_kernarg_size 88
		.amdhsa_user_sgpr_count 2
		.amdhsa_user_sgpr_dispatch_ptr 0
		.amdhsa_user_sgpr_queue_ptr 0
		.amdhsa_user_sgpr_kernarg_segment_ptr 1
		.amdhsa_user_sgpr_dispatch_id 0
		.amdhsa_user_sgpr_kernarg_preload_length 0
		.amdhsa_user_sgpr_kernarg_preload_offset 0
		.amdhsa_user_sgpr_private_segment_size 0
		.amdhsa_uses_dynamic_stack 0
		.amdhsa_enable_private_segment 0
		.amdhsa_system_sgpr_workgroup_id_x 1
		.amdhsa_system_sgpr_workgroup_id_y 1
		.amdhsa_system_sgpr_workgroup_id_z 0
		.amdhsa_system_sgpr_workgroup_info 0
		.amdhsa_system_vgpr_workitem_id 0
		.amdhsa_next_free_vgpr 36
		.amdhsa_next_free_sgpr 57
		.amdhsa_accum_offset 36
		.amdhsa_reserve_vcc 1
		.amdhsa_float_round_mode_32 0
		.amdhsa_float_round_mode_16_64 0
		.amdhsa_float_denorm_mode_32 3
		.amdhsa_float_denorm_mode_16_64 3
		.amdhsa_dx10_clamp 1
		.amdhsa_ieee_mode 1
		.amdhsa_fp16_overflow 0
		.amdhsa_tg_split 0
		.amdhsa_exception_fp_ieee_invalid_op 0
		.amdhsa_exception_fp_denorm_src 0
		.amdhsa_exception_fp_ieee_div_zero 0
		.amdhsa_exception_fp_ieee_overflow 0
		.amdhsa_exception_fp_ieee_underflow 0
		.amdhsa_exception_fp_ieee_inexact 0
		.amdhsa_exception_int_div_zero 0
	.end_amdhsa_kernel
	.section	.text._ZN9rocsolver6v33100L22larf_left_kernel_smallILi256EfiPfEEvT1_S3_T2_lS3_lPKT0_lS4_lS3_l,"axG",@progbits,_ZN9rocsolver6v33100L22larf_left_kernel_smallILi256EfiPfEEvT1_S3_T2_lS3_lPKT0_lS4_lS3_l,comdat
.Lfunc_end2:
	.size	_ZN9rocsolver6v33100L22larf_left_kernel_smallILi256EfiPfEEvT1_S3_T2_lS3_lPKT0_lS4_lS3_l, .Lfunc_end2-_ZN9rocsolver6v33100L22larf_left_kernel_smallILi256EfiPfEEvT1_S3_T2_lS3_lPKT0_lS4_lS3_l
                                        ; -- End function
	.set _ZN9rocsolver6v33100L22larf_left_kernel_smallILi256EfiPfEEvT1_S3_T2_lS3_lPKT0_lS4_lS3_l.num_vgpr, 36
	.set _ZN9rocsolver6v33100L22larf_left_kernel_smallILi256EfiPfEEvT1_S3_T2_lS3_lPKT0_lS4_lS3_l.num_agpr, 0
	.set _ZN9rocsolver6v33100L22larf_left_kernel_smallILi256EfiPfEEvT1_S3_T2_lS3_lPKT0_lS4_lS3_l.numbered_sgpr, 57
	.set _ZN9rocsolver6v33100L22larf_left_kernel_smallILi256EfiPfEEvT1_S3_T2_lS3_lPKT0_lS4_lS3_l.num_named_barrier, 0
	.set _ZN9rocsolver6v33100L22larf_left_kernel_smallILi256EfiPfEEvT1_S3_T2_lS3_lPKT0_lS4_lS3_l.private_seg_size, 0
	.set _ZN9rocsolver6v33100L22larf_left_kernel_smallILi256EfiPfEEvT1_S3_T2_lS3_lPKT0_lS4_lS3_l.uses_vcc, 1
	.set _ZN9rocsolver6v33100L22larf_left_kernel_smallILi256EfiPfEEvT1_S3_T2_lS3_lPKT0_lS4_lS3_l.uses_flat_scratch, 0
	.set _ZN9rocsolver6v33100L22larf_left_kernel_smallILi256EfiPfEEvT1_S3_T2_lS3_lPKT0_lS4_lS3_l.has_dyn_sized_stack, 0
	.set _ZN9rocsolver6v33100L22larf_left_kernel_smallILi256EfiPfEEvT1_S3_T2_lS3_lPKT0_lS4_lS3_l.has_recursion, 0
	.set _ZN9rocsolver6v33100L22larf_left_kernel_smallILi256EfiPfEEvT1_S3_T2_lS3_lPKT0_lS4_lS3_l.has_indirect_call, 0
	.section	.AMDGPU.csdata,"",@progbits
; Kernel info:
; codeLenInByte = 3140
; TotalNumSgprs: 63
; NumVgprs: 36
; NumAgprs: 0
; TotalNumVgprs: 36
; ScratchSize: 0
; MemoryBound: 0
; FloatMode: 240
; IeeeMode: 1
; LDSByteSize: 9216 bytes/workgroup (compile time only)
; SGPRBlocks: 7
; VGPRBlocks: 4
; NumSGPRsForWavesPerEU: 63
; NumVGPRsForWavesPerEU: 36
; AccumOffset: 36
; Occupancy: 8
; WaveLimiterHint : 1
; COMPUTE_PGM_RSRC2:SCRATCH_EN: 0
; COMPUTE_PGM_RSRC2:USER_SGPR: 2
; COMPUTE_PGM_RSRC2:TRAP_HANDLER: 0
; COMPUTE_PGM_RSRC2:TGID_X_EN: 1
; COMPUTE_PGM_RSRC2:TGID_Y_EN: 1
; COMPUTE_PGM_RSRC2:TGID_Z_EN: 0
; COMPUTE_PGM_RSRC2:TIDIG_COMP_CNT: 0
; COMPUTE_PGM_RSRC3_GFX90A:ACCUM_OFFSET: 8
; COMPUTE_PGM_RSRC3_GFX90A:TG_SPLIT: 0
	.section	.text._ZN9rocsolver6v33100L22larf_left_kernel_smallILi512EfiPfEEvT1_S3_T2_lS3_lPKT0_lS4_lS3_l,"axG",@progbits,_ZN9rocsolver6v33100L22larf_left_kernel_smallILi512EfiPfEEvT1_S3_T2_lS3_lPKT0_lS4_lS3_l,comdat
	.globl	_ZN9rocsolver6v33100L22larf_left_kernel_smallILi512EfiPfEEvT1_S3_T2_lS3_lPKT0_lS4_lS3_l ; -- Begin function _ZN9rocsolver6v33100L22larf_left_kernel_smallILi512EfiPfEEvT1_S3_T2_lS3_lPKT0_lS4_lS3_l
	.p2align	8
	.type	_ZN9rocsolver6v33100L22larf_left_kernel_smallILi512EfiPfEEvT1_S3_T2_lS3_lPKT0_lS4_lS3_l,@function
_ZN9rocsolver6v33100L22larf_left_kernel_smallILi512EfiPfEEvT1_S3_T2_lS3_lPKT0_lS4_lS3_l: ; @_ZN9rocsolver6v33100L22larf_left_kernel_smallILi512EfiPfEEvT1_S3_T2_lS3_lPKT0_lS4_lS3_l
; %bb.0:
	s_load_dwordx2 s[28:29], s[0:1], 0x0
	s_load_dwordx8 s[20:27], s[0:1], 0x20
	s_load_dwordx2 s[8:9], s[0:1], 0x40
	s_ashr_i32 s30, s2, 31
	s_waitcnt lgkmcnt(0)
	v_cmp_gt_i32_e64 s[18:19], s28, v0
	v_xad_u32 v4, v0, -1, s28
	s_and_saveexec_b64 s[10:11], s[18:19]
	s_cbranch_execz .LBB3_17
; %bb.1:
	s_load_dwordx4 s[4:7], s[0:1], 0x8
	s_load_dword s31, s[0:1], 0x18
	s_mul_i32 s12, s20, s30
	s_mul_hi_u32 s13, s20, s2
	s_add_i32 s12, s13, s12
	s_mul_i32 s13, s21, s2
	s_add_i32 s13, s12, s13
	s_mul_i32 s12, s20, s2
	s_lshl_b64 s[12:13], s[12:13], 2
	s_waitcnt lgkmcnt(0)
	s_add_u32 s12, s4, s12
	s_addc_u32 s13, s5, s13
	s_lshl_b64 s[4:5], s[6:7], 2
	s_add_u32 s12, s12, s4
	s_addc_u32 s13, s13, s5
	s_sub_i32 s4, 1, s28
	s_mul_i32 s4, s31, s4
	s_cmp_lt_i32 s31, 1
	s_cselect_b32 s20, s4, 0
	s_movk_i32 s4, 0x2dff
	v_cmp_lt_u32_e32 vcc, s4, v4
	s_mov_b64 s[4:5], 0
                                        ; implicit-def: $vgpr1
                                        ; implicit-def: $vgpr5
	s_and_saveexec_b64 s[6:7], vcc
	s_xor_b64 s[14:15], exec, s[6:7]
	s_cbranch_execnz .LBB3_4
; %bb.2:
	s_andn2_saveexec_b64 s[6:7], s[14:15]
	s_cbranch_execnz .LBB3_14
.LBB3_3:
	s_or_b64 exec, exec, s[6:7]
	s_and_b64 exec, exec, s[4:5]
	s_cbranch_execnz .LBB3_15
	s_branch .LBB3_17
.LBB3_4:
	s_lshl_b32 s21, s31, 9
	s_sub_i32 s6, 0, s21
	s_cmp_lt_i32 s21, 0
	s_cselect_b64 vcc, -1, 0
	s_and_b64 s[4:5], vcc, exec
	v_lshrrev_b32_e32 v5, 9, v4
	s_cselect_b32 s6, s6, s21
	v_mul_lo_u32 v1, v0, s31
	v_mul_hi_u32 v2, s6, v5
	v_add_u32_e32 v1, s20, v1
	v_cmp_eq_u32_e64 s[4:5], 0, v2
	v_mul_lo_u32 v2, s6, v5
	v_add_u32_e32 v3, v1, v2
	v_sub_u32_e32 v2, v1, v2
	v_cmp_gt_i32_e64 s[6:7], v2, v1
	s_nop 1
	v_cndmask_b32_e64 v2, 0, 1, s[6:7]
	v_cmp_lt_i32_e64 s[6:7], v3, v1
	s_nop 1
	v_cndmask_b32_e64 v1, 0, 1, s[6:7]
	v_cndmask_b32_e32 v1, v1, v2, vcc
	v_and_b32_e32 v1, 1, v1
	v_cmp_eq_u32_e32 vcc, 1, v1
	s_xor_b64 s[16:17], vcc, -1
	s_mov_b64 s[6:7], -1
	s_and_b64 s[16:17], s[16:17], s[4:5]
	v_mov_b32_e32 v1, v0
	s_and_saveexec_b64 s[4:5], s[16:17]
	s_cbranch_execz .LBB3_13
; %bb.5:
	v_add_u32_e32 v2, -1, v5
	v_or_b32_e32 v1, 0x200, v0
	v_lshrrev_b32_e32 v3, 1, v2
	s_mov_b32 s33, 0
	v_add_u32_e32 v6, 1, v3
	v_cmp_lt_u32_e32 vcc, 5, v2
	v_mov_b32_e32 v9, 0
	v_mov_b64_e32 v[2:3], v[0:1]
	s_and_saveexec_b64 s[6:7], vcc
	s_cbranch_execz .LBB3_9
; %bb.6:
	v_and_b32_e32 v7, -4, v6
	v_lshlrev_b32_e32 v8, 2, v0
	s_mov_b64 s[16:17], 0
	v_mov_b64_e32 v[2:3], v[0:1]
.LBB3_7:                                ; =>This Inner Loop Header: Depth=1
	v_mul_lo_u32 v1, v3, s31
	v_mul_lo_u32 v9, v2, s31
	v_add_u32_e32 v11, 0x400, v2
	v_add_u32_e32 v13, 0x400, v3
	v_add_u32_e32 v14, 0x800, v2
	v_add_u32_e32 v15, 0x800, v3
	v_add_u32_e32 v16, 0xc00, v2
	v_add_u32_e32 v17, 0xc00, v3
	v_add_u32_e32 v10, s20, v9
	v_add_u32_e32 v12, s20, v1
	v_mul_lo_u32 v1, v13, s31
	v_mul_lo_u32 v9, v11, s31
	;; [unrolled: 1-line block ×6, first 2 shown]
	v_ashrrev_i32_e32 v11, 31, v10
	v_add_u32_e32 v14, s20, v9
	v_add_u32_e32 v16, s20, v1
	;; [unrolled: 1-line block ×6, first 2 shown]
	v_ashrrev_i32_e32 v13, 31, v12
	v_lshl_add_u64 v[10:11], v[10:11], 2, s[12:13]
	v_ashrrev_i32_e32 v17, 31, v16
	v_ashrrev_i32_e32 v15, 31, v14
	;; [unrolled: 1-line block ×6, first 2 shown]
	v_lshl_add_u64 v[12:13], v[12:13], 2, s[12:13]
	v_lshl_add_u64 v[14:15], v[14:15], 2, s[12:13]
	v_lshl_add_u64 v[16:17], v[16:17], 2, s[12:13]
	v_lshl_add_u64 v[18:19], v[18:19], 2, s[12:13]
	v_lshl_add_u64 v[20:21], v[20:21], 2, s[12:13]
	v_lshl_add_u64 v[22:23], v[22:23], 2, s[12:13]
	v_lshl_add_u64 v[24:25], v[24:25], 2, s[12:13]
	global_load_dword v1, v[10:11], off
	global_load_dword v26, v[12:13], off
	;; [unrolled: 1-line block ×8, first 2 shown]
	v_add_u32_e32 v7, -4, v7
	s_add_i32 s33, s33, 8
	v_cmp_eq_u32_e32 vcc, 0, v7
	v_add_u32_e32 v3, 0x1000, v3
	v_add_u32_e32 v2, 0x1000, v2
	v_mov_b32_e32 v9, s33
	s_or_b64 s[16:17], vcc, s[16:17]
	s_waitcnt vmcnt(6)
	ds_write2st64_b32 v8, v1, v26 offset1:8
	s_waitcnt vmcnt(4)
	ds_write2st64_b32 v8, v27, v28 offset0:16 offset1:24
	s_waitcnt vmcnt(2)
	ds_write2st64_b32 v8, v29, v30 offset0:32 offset1:40
	s_waitcnt vmcnt(0)
	ds_write2st64_b32 v8, v31, v32 offset0:48 offset1:56
	v_add_u32_e32 v8, 0x4000, v8
	s_andn2_b64 exec, exec, s[16:17]
	s_cbranch_execnz .LBB3_7
; %bb.8:
	s_or_b64 exec, exec, s[16:17]
.LBB3_9:
	s_or_b64 exec, exec, s[6:7]
	v_and_b32_e32 v1, 3, v6
	v_cmp_ne_u32_e32 vcc, 0, v1
	s_and_saveexec_b64 s[6:7], vcc
	s_cbranch_execz .LBB3_12
; %bb.10:
	v_lshlrev_b32_e32 v6, 2, v0
	v_lshl_or_b32 v6, v9, 11, v6
	s_mov_b64 s[16:17], 0
.LBB3_11:                               ; =>This Inner Loop Header: Depth=1
	v_mul_lo_u32 v8, v2, s31
	v_mul_lo_u32 v7, v3, s31
	v_add_u32_e32 v8, s20, v8
	v_add_u32_e32 v10, s20, v7
	v_ashrrev_i32_e32 v9, 31, v8
	v_ashrrev_i32_e32 v11, 31, v10
	v_lshl_add_u64 v[8:9], v[8:9], 2, s[12:13]
	v_lshl_add_u64 v[10:11], v[10:11], 2, s[12:13]
	global_load_dword v7, v[8:9], off
	global_load_dword v12, v[10:11], off
	v_add_u32_e32 v1, -1, v1
	v_cmp_eq_u32_e32 vcc, 0, v1
	v_add_u32_e32 v3, 0x400, v3
	v_add_u32_e32 v2, 0x400, v2
	s_or_b64 s[16:17], vcc, s[16:17]
	s_waitcnt vmcnt(0)
	ds_write2st64_b32 v6, v7, v12 offset1:8
	v_add_u32_e32 v6, 0x1000, v6
	s_andn2_b64 exec, exec, s[16:17]
	s_cbranch_execnz .LBB3_11
.LBB3_12:
	s_or_b64 exec, exec, s[6:7]
	v_add_u32_e32 v2, 1, v5
	v_and_b32_e32 v3, 0xfffffe, v2
	v_cmp_ne_u32_e32 vcc, v2, v3
	v_lshl_or_b32 v1, v3, 9, v0
	s_orn2_b64 s[6:7], vcc, exec
.LBB3_13:
	s_or_b64 exec, exec, s[4:5]
	v_mov_b32_e32 v5, s21
	s_and_b64 s[4:5], s[6:7], exec
	s_andn2_saveexec_b64 s[6:7], s[14:15]
	s_cbranch_execz .LBB3_3
.LBB3_14:
	s_lshl_b32 s14, s31, 9
	v_mov_b32_e32 v5, s14
	s_or_b64 s[4:5], s[4:5], exec
	v_mov_b32_e32 v1, v0
	s_or_b64 exec, exec, s[6:7]
	s_and_b64 exec, exec, s[4:5]
	s_cbranch_execz .LBB3_17
.LBB3_15:
	v_mul_lo_u32 v2, v1, s31
	v_add_u32_e32 v2, s20, v2
	v_lshlrev_b32_e32 v6, 2, v1
	s_mov_b64 s[4:5], 0
.LBB3_16:                               ; =>This Inner Loop Header: Depth=1
	v_ashrrev_i32_e32 v3, 31, v2
	v_lshl_add_u64 v[8:9], v[2:3], 2, s[12:13]
	global_load_dword v3, v[8:9], off
	v_add_u32_e32 v1, 0x200, v1
	v_cmp_le_i32_e32 vcc, s28, v1
	v_add_u32_e32 v2, v2, v5
	s_or_b64 s[4:5], vcc, s[4:5]
	s_waitcnt vmcnt(0)
	ds_write_b32 v6, v3
	v_add_u32_e32 v6, 0x800, v6
	s_andn2_b64 exec, exec, s[4:5]
	s_cbranch_execnz .LBB3_16
.LBB3_17:
	s_or_b64 exec, exec, s[10:11]
	s_cmp_ge_i32 s3, s29
	s_waitcnt lgkmcnt(0)
	s_barrier
	s_cbranch_scc1 .LBB3_55
; %bb.18:
	s_load_dwordx2 s[4:5], s[0:1], 0x50
	s_load_dword s33, s[0:1], 0x48
	v_and_b32_e32 v1, 63, v0
	v_lshrrev_b32_e32 v14, 4, v0
	v_mov_b32_e32 v18, 0x2004
	s_waitcnt lgkmcnt(0)
	s_mul_i32 s1, s4, s30
	s_mul_hi_u32 s6, s4, s2
	s_mul_i32 s5, s5, s2
	s_add_i32 s1, s6, s1
	s_mul_i32 s0, s4, s2
	s_add_i32 s1, s1, s5
	s_lshl_b64 s[34:35], s[0:1], 2
	s_add_u32 s0, s26, s34
	s_addc_u32 s1, s27, s35
	s_lshl_b64 s[36:37], s[8:9], 2
	s_add_u32 s20, s0, s36
	s_addc_u32 s21, s1, s37
	s_mul_i32 s0, s24, s30
	s_mul_hi_u32 s1, s24, s2
	s_add_i32 s0, s1, s0
	s_mul_i32 s1, s25, s2
	s_add_i32 s1, s0, s1
	s_mul_i32 s0, s24, s2
	s_lshl_b64 s[0:1], s[0:1], 2
	s_add_u32 s22, s22, s0
	s_addc_u32 s23, s23, s1
	s_movk_i32 s2, 0xdff
	s_cmp_gt_i32 s28, 1
	v_cmp_eq_u32_e64 s[0:1], 0, v1
	v_lshrrev_b32_e32 v1, 9, v4
	v_cmp_lt_u32_e64 s[8:9], s2, v4
	s_movk_i32 s2, 0x1ff
	s_cselect_b64 s[24:25], -1, 0
	v_add_u32_e32 v3, -1, v1
	v_cmp_lt_u32_e64 s[10:11], s2, v4
	s_add_u32 s2, s34, s36
	v_add_u32_e32 v2, 1, v1
	v_lshrrev_b32_e32 v1, 1, v3
	s_addc_u32 s30, s35, s37
	v_add_u32_e32 v5, 1, v1
	v_and_b32_e32 v4, 0xfffffe, v2
	s_add_u32 s26, s26, s2
	v_lshl_or_b32 v15, v4, 9, v0
	v_and_b32_e32 v16, 3, v5
	v_and_b32_e32 v17, -4, v5
	v_cmp_ne_u32_e64 s[16:17], v2, v4
	v_mov_b32_e32 v5, 0
	s_addc_u32 s27, s27, s30
	s_lshl_b32 s2, s33, 6
	v_mbcnt_lo_u32_b32 v4, -1, 0
	v_and_b32_e32 v8, 7, v2
	v_cmp_lt_u32_e64 s[12:13], 5, v3
	v_lshlrev_b32_e32 v2, 2, v0
	v_mov_b32_e32 v3, v5
	s_add_u32 s48, s26, 0x3800
	v_mbcnt_hi_u32_b32 v21, -1, v4
	v_mov_b32_e32 v4, 0x80
	v_cmp_eq_u32_e64 s[4:5], 0, v0
	v_cmp_ne_u32_e64 s[6:7], 0, v8
	v_or_b32_e32 v1, 0x200, v0
	v_cmp_ne_u32_e64 s[14:15], 0, v16
	v_lshl_add_u64 v[6:7], s[26:27], 0, v[2:3]
	s_mul_i32 s30, s3, s33
	v_lshlrev_b32_e32 v3, 2, v8
	s_addc_u32 s49, s27, 0
	s_mov_b64 s[34:35], 0x800
	s_mov_b64 s[36:37], 0x4000
	v_mov_b32_e32 v19, 0x200c
	v_mov_b32_e32 v20, 0x2014
	v_and_b32_e32 v22, 63, v21
	v_lshl_or_b32 v23, v21, 2, v4
	s_branch .LBB3_20
.LBB3_19:                               ;   in Loop: Header=BB3_20 Depth=1
	s_or_b64 exec, exec, s[40:41]
	s_add_i32 s3, s3, 64
	s_add_i32 s30, s30, s2
	s_cmp_ge_i32 s3, s29
	s_cbranch_scc1 .LBB3_55
.LBB3_20:                               ; =>This Loop Header: Depth=1
                                        ;     Child Loop BB3_23 Depth 2
                                        ;     Child Loop BB3_27 Depth 2
	;; [unrolled: 1-line block ×5, first 2 shown]
	s_ashr_i32 s31, s30, 31
	s_lshl_b64 s[38:39], s[30:31], 2
	v_mov_b32_e32 v10, 0
	s_and_saveexec_b64 s[40:41], s[18:19]
	s_cbranch_execz .LBB3_30
; %bb.21:                               ;   in Loop: Header=BB3_20 Depth=1
	v_mov_b32_e32 v10, 0
	v_mov_b32_e32 v4, v0
	s_and_saveexec_b64 s[42:43], s[6:7]
	s_cbranch_execz .LBB3_25
; %bb.22:                               ;   in Loop: Header=BB3_20 Depth=1
	v_lshl_add_u64 v[8:9], v[6:7], 0, s[38:39]
	v_mov_b32_e32 v10, 0
	s_mov_b64 s[44:45], 0
	v_mov_b32_e32 v11, v3
	v_mov_b32_e32 v12, v2
	v_mov_b32_e32 v4, v0
.LBB3_23:                               ;   Parent Loop BB3_20 Depth=1
                                        ; =>  This Inner Loop Header: Depth=2
	global_load_dword v13, v[8:9], off
	ds_read_b32 v24, v12
	v_add_u32_e32 v11, -4, v11
	v_cmp_eq_u32_e32 vcc, 0, v11
	v_add_u32_e32 v4, 0x200, v4
	v_add_u32_e32 v12, 0x800, v12
	v_lshl_add_u64 v[8:9], v[8:9], 0, s[34:35]
	s_or_b64 s[44:45], vcc, s[44:45]
	s_waitcnt vmcnt(0) lgkmcnt(0)
	v_fmac_f32_e32 v10, v24, v13
	s_andn2_b64 exec, exec, s[44:45]
	s_cbranch_execnz .LBB3_23
; %bb.24:                               ;   in Loop: Header=BB3_20 Depth=1
	s_or_b64 exec, exec, s[44:45]
.LBB3_25:                               ;   in Loop: Header=BB3_20 Depth=1
	s_or_b64 exec, exec, s[42:43]
	s_and_saveexec_b64 s[42:43], s[8:9]
	s_cbranch_execz .LBB3_29
; %bb.26:                               ;   in Loop: Header=BB3_20 Depth=1
	s_add_u32 s44, s48, s38
	s_addc_u32 s45, s49, s39
	v_lshl_add_u64 v[8:9], v[4:5], 2, s[44:45]
	v_lshlrev_b32_e32 v11, 2, v4
	s_mov_b64 s[44:45], 0
.LBB3_27:                               ;   Parent Loop BB3_20 Depth=1
                                        ; =>  This Inner Loop Header: Depth=2
	v_add_co_u32_e32 v12, vcc, 0xffffd000, v8
	v_add_u32_e32 v4, 0x1000, v4
	s_nop 0
	v_addc_co_u32_e32 v13, vcc, -1, v9, vcc
	global_load_dword v30, v[12:13], off offset:-2048
	global_load_dword v31, v[12:13], off
	v_add_co_u32_e32 v24, vcc, 0xffffe000, v8
	s_nop 1
	v_addc_co_u32_e32 v25, vcc, -1, v9, vcc
	v_add_co_u32_e32 v12, vcc, 0xfffff000, v8
	s_nop 1
	v_addc_co_u32_e32 v13, vcc, -1, v9, vcc
	global_load_dword v32, v[24:25], off offset:-2048
	global_load_dword v33, v[24:25], off
	global_load_dword v34, v[12:13], off offset:-2048
	global_load_dword v35, v[8:9], off offset:-4096
	;; [unrolled: 1-line block ×3, first 2 shown]
	global_load_dword v37, v[8:9], off
	ds_read2st64_b32 v[12:13], v11 offset1:8
	ds_read2st64_b32 v[24:25], v11 offset0:16 offset1:24
	ds_read2st64_b32 v[26:27], v11 offset0:32 offset1:40
	;; [unrolled: 1-line block ×3, first 2 shown]
	v_cmp_le_i32_e32 vcc, s28, v4
	v_add_u32_e32 v11, 0x4000, v11
	s_or_b64 s[44:45], vcc, s[44:45]
	v_lshl_add_u64 v[8:9], v[8:9], 0, s[36:37]
	s_waitcnt vmcnt(7) lgkmcnt(3)
	v_fmac_f32_e32 v10, v12, v30
	s_waitcnt vmcnt(6)
	v_fmac_f32_e32 v10, v13, v31
	s_waitcnt vmcnt(5) lgkmcnt(2)
	v_fmac_f32_e32 v10, v24, v32
	s_waitcnt vmcnt(4)
	v_fmac_f32_e32 v10, v25, v33
	;; [unrolled: 4-line block ×4, first 2 shown]
	s_andn2_b64 exec, exec, s[44:45]
	s_cbranch_execnz .LBB3_27
; %bb.28:                               ;   in Loop: Header=BB3_20 Depth=1
	s_or_b64 exec, exec, s[44:45]
.LBB3_29:                               ;   in Loop: Header=BB3_20 Depth=1
	s_or_b64 exec, exec, s[42:43]
.LBB3_30:                               ;   in Loop: Header=BB3_20 Depth=1
	s_or_b64 exec, exec, s[40:41]
	s_and_b64 vcc, exec, s[24:25]
	s_cbranch_vccz .LBB3_37
; %bb.31:                               ;   in Loop: Header=BB3_20 Depth=1
	v_cmp_ne_u32_e32 vcc, 63, v22
	s_nop 1
	v_addc_co_u32_e32 v4, vcc, 0, v21, vcc
	v_lshlrev_b32_e32 v4, 2, v4
	ds_bpermute_b32 v4, v4, v10
	v_cmp_gt_u32_e32 vcc, 62, v22
	s_waitcnt lgkmcnt(0)
	v_add_f32_e32 v4, v10, v4
	v_cndmask_b32_e64 v8, 0, 2, vcc
	v_add_lshl_u32 v8, v8, v21, 2
	ds_bpermute_b32 v8, v8, v4
	v_cmp_gt_u32_e32 vcc, 60, v22
	s_waitcnt lgkmcnt(0)
	v_add_f32_e32 v4, v4, v8
	v_cndmask_b32_e64 v9, 0, 4, vcc
	v_add_lshl_u32 v9, v9, v21, 2
	;; [unrolled: 6-line block ×4, first 2 shown]
	ds_bpermute_b32 v8, v8, v4
	s_waitcnt lgkmcnt(0)
	v_add_f32_e32 v4, v4, v8
	ds_bpermute_b32 v8, v23, v4
	s_waitcnt lgkmcnt(0)
	v_add_f32_e32 v4, v4, v8
	s_and_saveexec_b64 s[40:41], s[0:1]
; %bb.32:                               ;   in Loop: Header=BB3_20 Depth=1
	ds_write_b32 v14, v4 offset:8192
; %bb.33:                               ;   in Loop: Header=BB3_20 Depth=1
	s_or_b64 exec, exec, s[40:41]
	s_mov_b64 s[42:43], 0
	s_mov_b64 s[40:41], 0
	s_waitcnt lgkmcnt(0)
	s_barrier
                                        ; implicit-def: $vgpr8
	s_and_saveexec_b64 s[44:45], s[4:5]
	s_xor_b64 s[44:45], exec, s[44:45]
	s_cbranch_execz .LBB3_35
; %bb.34:                               ;   in Loop: Header=BB3_20 Depth=1
	ds_read2_b32 v[8:9], v18 offset1:1
	ds_read2_b32 v[12:13], v19 offset1:1
	;; [unrolled: 1-line block ×3, first 2 shown]
	ds_read_b32 v11, v5 offset:8220
	s_mov_b64 s[40:41], exec
	s_waitcnt lgkmcnt(3)
	v_add_f32_e32 v4, v4, v8
	v_add_f32_e32 v4, v4, v9
	s_waitcnt lgkmcnt(2)
	v_add_f32_e32 v4, v4, v12
	v_add_f32_e32 v4, v4, v13
	;; [unrolled: 3-line block ×3, first 2 shown]
	s_waitcnt lgkmcnt(0)
	v_add_f32_e32 v8, v4, v11
.LBB3_35:                               ;   in Loop: Header=BB3_20 Depth=1
	s_or_b64 exec, exec, s[44:45]
	s_and_b64 vcc, exec, s[42:43]
	s_cbranch_vccnz .LBB3_38
.LBB3_36:                               ;   in Loop: Header=BB3_20 Depth=1
	v_mov_b32_e32 v10, v8
	s_and_saveexec_b64 s[42:43], s[40:41]
	s_cbranch_execnz .LBB3_39
	s_branch .LBB3_40
.LBB3_37:                               ;   in Loop: Header=BB3_20 Depth=1
	s_mov_b64 s[40:41], 0
                                        ; implicit-def: $vgpr8
	s_cbranch_execz .LBB3_36
.LBB3_38:                               ;   in Loop: Header=BB3_20 Depth=1
	s_andn2_b64 s[40:41], s[40:41], exec
	s_and_b64 s[42:43], s[4:5], exec
	s_or_b64 s[40:41], s[40:41], s[42:43]
	s_and_saveexec_b64 s[42:43], s[40:41]
.LBB3_39:                               ;   in Loop: Header=BB3_20 Depth=1
	ds_write_b32 v5, v10 offset:8192
.LBB3_40:                               ;   in Loop: Header=BB3_20 Depth=1
	s_or_b64 exec, exec, s[42:43]
	s_waitcnt lgkmcnt(0)
	s_barrier
	s_and_saveexec_b64 s[40:41], s[18:19]
	s_cbranch_execz .LBB3_19
; %bb.41:                               ;   in Loop: Header=BB3_20 Depth=1
	global_load_dword v4, v5, s[22:23]
	ds_read_b32 v8, v5 offset:8192
	s_mov_b64 s[44:45], -1
	v_mov_b32_e32 v10, v0
	s_waitcnt vmcnt(0) lgkmcnt(0)
	v_mul_f32_e64 v8, v8, -v4
	v_mov_b32_e32 v4, v2
	s_and_saveexec_b64 s[42:43], s[10:11]
	s_cbranch_execz .LBB3_52
; %bb.42:                               ;   in Loop: Header=BB3_20 Depth=1
	s_mul_i32 s31, s3, s33
	v_mov_b32_e32 v9, v8
	v_mov_b32_e32 v13, 0
	v_mov_b64_e32 v[10:11], v[0:1]
	s_and_saveexec_b64 s[44:45], s[12:13]
	s_cbranch_execz .LBB3_46
; %bb.43:                               ;   in Loop: Header=BB3_20 Depth=1
	s_add_i32 s50, s31, 0x400
	s_add_i32 s52, s31, 0x800
	;; [unrolled: 1-line block ×3, first 2 shown]
	s_mov_b32 s51, s50
	s_mov_b32 s53, s52
	s_mov_b32 s55, s54
	s_mov_b32 s56, 0
	s_mov_b64 s[46:47], 0
	v_mov_b32_e32 v4, v17
	v_mov_b32_e32 v12, v2
	v_mov_b64_e32 v[10:11], v[0:1]
.LBB3_44:                               ;   Parent Loop BB3_20 Depth=1
                                        ; =>  This Inner Loop Header: Depth=2
	v_add_u32_e32 v24, s31, v10
	v_add_u32_e32 v26, s31, v11
	v_ashrrev_i32_e32 v25, 31, v24
	v_ashrrev_i32_e32 v27, 31, v26
	v_lshl_add_u64 v[24:25], v[24:25], 2, s[20:21]
	v_lshl_add_u64 v[26:27], v[26:27], 2, s[20:21]
	global_load_dword v28, v[24:25], off
	global_load_dword v29, v[26:27], off
	ds_read2st64_b32 v[30:31], v12 offset1:8
	v_add_u32_e32 v32, s50, v10
	v_add_u32_e32 v34, s51, v11
	v_ashrrev_i32_e32 v33, 31, v32
	v_ashrrev_i32_e32 v35, 31, v34
	v_lshl_add_u64 v[32:33], v[32:33], 2, s[20:21]
	v_lshl_add_u64 v[34:35], v[34:35], 2, s[20:21]
	v_add_u32_e32 v4, -4, v4
	s_add_i32 s56, s56, 8
	v_cmp_eq_u32_e32 vcc, 0, v4
	v_mov_b32_e32 v13, s56
	s_or_b64 s[46:47], vcc, s[46:47]
	s_waitcnt vmcnt(0) lgkmcnt(0)
	v_pk_fma_f32 v[28:29], v[8:9], v[30:31], v[28:29]
	global_store_dword v[24:25], v28, off
	global_store_dword v[26:27], v29, off
	global_load_dword v24, v[32:33], off
	s_nop 0
	global_load_dword v25, v[34:35], off
	ds_read2st64_b32 v[26:27], v12 offset0:16 offset1:24
	v_add_u32_e32 v28, s52, v10
	v_add_u32_e32 v30, s53, v11
	v_ashrrev_i32_e32 v29, 31, v28
	v_ashrrev_i32_e32 v31, 31, v30
	v_lshl_add_u64 v[28:29], v[28:29], 2, s[20:21]
	v_lshl_add_u64 v[30:31], v[30:31], 2, s[20:21]
	s_waitcnt vmcnt(0) lgkmcnt(0)
	v_pk_fma_f32 v[24:25], v[8:9], v[26:27], v[24:25]
	global_store_dword v[32:33], v24, off
	global_store_dword v[34:35], v25, off
	global_load_dword v24, v[28:29], off
	s_nop 0
	global_load_dword v25, v[30:31], off
	ds_read2st64_b32 v[26:27], v12 offset0:32 offset1:40
	v_add_u32_e32 v32, s54, v10
	v_add_u32_e32 v34, s55, v11
	v_ashrrev_i32_e32 v33, 31, v32
	v_ashrrev_i32_e32 v35, 31, v34
	v_lshl_add_u64 v[32:33], v[32:33], 2, s[20:21]
	v_lshl_add_u64 v[34:35], v[34:35], 2, s[20:21]
	v_add_u32_e32 v11, 0x1000, v11
	v_add_u32_e32 v10, 0x1000, v10
	s_waitcnt vmcnt(0) lgkmcnt(0)
	v_pk_fma_f32 v[24:25], v[8:9], v[26:27], v[24:25]
	global_store_dword v[28:29], v24, off
	global_store_dword v[30:31], v25, off
	global_load_dword v24, v[32:33], off
	s_nop 0
	global_load_dword v25, v[34:35], off
	ds_read2st64_b32 v[26:27], v12 offset0:48 offset1:56
	v_add_u32_e32 v12, 0x4000, v12
	s_waitcnt vmcnt(0) lgkmcnt(0)
	v_pk_fma_f32 v[24:25], v[8:9], v[26:27], v[24:25]
	global_store_dword v[32:33], v24, off
	global_store_dword v[34:35], v25, off
	s_andn2_b64 exec, exec, s[46:47]
	s_cbranch_execnz .LBB3_44
; %bb.45:                               ;   in Loop: Header=BB3_20 Depth=1
	s_or_b64 exec, exec, s[46:47]
.LBB3_46:                               ;   in Loop: Header=BB3_20 Depth=1
	s_or_b64 exec, exec, s[44:45]
	s_and_saveexec_b64 s[44:45], s[14:15]
	s_cbranch_execz .LBB3_49
; %bb.47:                               ;   in Loop: Header=BB3_20 Depth=1
	v_lshl_or_b32 v4, v13, 11, v2
	s_mov_b64 s[46:47], 0
	v_mov_b32_e32 v12, v16
.LBB3_48:                               ;   Parent Loop BB3_20 Depth=1
                                        ; =>  This Inner Loop Header: Depth=2
	v_add_u32_e32 v24, s31, v10
	v_add_u32_e32 v26, s31, v11
	v_ashrrev_i32_e32 v25, 31, v24
	v_ashrrev_i32_e32 v27, 31, v26
	v_lshl_add_u64 v[24:25], v[24:25], 2, s[20:21]
	v_lshl_add_u64 v[26:27], v[26:27], 2, s[20:21]
	global_load_dword v28, v[24:25], off
	global_load_dword v29, v[26:27], off
	ds_read2st64_b32 v[30:31], v4 offset1:8
	v_add_u32_e32 v12, -1, v12
	v_cmp_eq_u32_e32 vcc, 0, v12
	v_add_u32_e32 v11, 0x400, v11
	v_add_u32_e32 v10, 0x400, v10
	v_add_u32_e32 v4, 0x1000, v4
	s_or_b64 s[46:47], vcc, s[46:47]
	s_waitcnt vmcnt(0) lgkmcnt(0)
	v_pk_fma_f32 v[28:29], v[8:9], v[30:31], v[28:29]
	global_store_dword v[24:25], v28, off
	global_store_dword v[26:27], v29, off
	s_andn2_b64 exec, exec, s[46:47]
	s_cbranch_execnz .LBB3_48
.LBB3_49:                               ;   in Loop: Header=BB3_20 Depth=1
	s_or_b64 exec, exec, s[44:45]
	s_mov_b64 s[44:45], 0
                                        ; implicit-def: $vgpr4
	s_and_saveexec_b64 s[46:47], s[16:17]
; %bb.50:                               ;   in Loop: Header=BB3_20 Depth=1
	s_mov_b64 s[44:45], exec
	v_lshlrev_b32_e32 v4, 2, v15
; %bb.51:                               ;   in Loop: Header=BB3_20 Depth=1
	s_or_b64 exec, exec, s[46:47]
	s_orn2_b64 s[44:45], s[44:45], exec
	v_mov_b32_e32 v10, v15
.LBB3_52:                               ;   in Loop: Header=BB3_20 Depth=1
	s_or_b64 exec, exec, s[42:43]
	s_and_b64 exec, exec, s[44:45]
	s_cbranch_execz .LBB3_19
; %bb.53:                               ;   in Loop: Header=BB3_20 Depth=1
	s_add_u32 s38, s26, s38
	v_ashrrev_i32_e32 v11, 31, v10
	s_addc_u32 s39, s27, s39
	v_lshl_add_u64 v[12:13], v[10:11], 2, s[38:39]
	s_mov_b64 s[38:39], 0
.LBB3_54:                               ;   Parent Loop BB3_20 Depth=1
                                        ; =>  This Inner Loop Header: Depth=2
	global_load_dword v9, v[12:13], off
	ds_read_b32 v11, v4
	v_add_u32_e32 v10, 0x200, v10
	v_cmp_le_i32_e32 vcc, s28, v10
	s_or_b64 s[38:39], vcc, s[38:39]
	v_add_u32_e32 v4, 0x800, v4
	s_waitcnt vmcnt(0) lgkmcnt(0)
	v_fmac_f32_e32 v9, v8, v11
	global_store_dword v[12:13], v9, off
	v_lshl_add_u64 v[12:13], v[12:13], 0, s[34:35]
	s_andn2_b64 exec, exec, s[38:39]
	s_cbranch_execnz .LBB3_54
	s_branch .LBB3_19
.LBB3_55:
	s_endpgm
	.section	.rodata,"a",@progbits
	.p2align	6, 0x0
	.amdhsa_kernel _ZN9rocsolver6v33100L22larf_left_kernel_smallILi512EfiPfEEvT1_S3_T2_lS3_lPKT0_lS4_lS3_l
		.amdhsa_group_segment_fixed_size 10240
		.amdhsa_private_segment_fixed_size 0
		.amdhsa_kernarg_size 88
		.amdhsa_user_sgpr_count 2
		.amdhsa_user_sgpr_dispatch_ptr 0
		.amdhsa_user_sgpr_queue_ptr 0
		.amdhsa_user_sgpr_kernarg_segment_ptr 1
		.amdhsa_user_sgpr_dispatch_id 0
		.amdhsa_user_sgpr_kernarg_preload_length 0
		.amdhsa_user_sgpr_kernarg_preload_offset 0
		.amdhsa_user_sgpr_private_segment_size 0
		.amdhsa_uses_dynamic_stack 0
		.amdhsa_enable_private_segment 0
		.amdhsa_system_sgpr_workgroup_id_x 1
		.amdhsa_system_sgpr_workgroup_id_y 1
		.amdhsa_system_sgpr_workgroup_id_z 0
		.amdhsa_system_sgpr_workgroup_info 0
		.amdhsa_system_vgpr_workitem_id 0
		.amdhsa_next_free_vgpr 38
		.amdhsa_next_free_sgpr 57
		.amdhsa_accum_offset 40
		.amdhsa_reserve_vcc 1
		.amdhsa_float_round_mode_32 0
		.amdhsa_float_round_mode_16_64 0
		.amdhsa_float_denorm_mode_32 3
		.amdhsa_float_denorm_mode_16_64 3
		.amdhsa_dx10_clamp 1
		.amdhsa_ieee_mode 1
		.amdhsa_fp16_overflow 0
		.amdhsa_tg_split 0
		.amdhsa_exception_fp_ieee_invalid_op 0
		.amdhsa_exception_fp_denorm_src 0
		.amdhsa_exception_fp_ieee_div_zero 0
		.amdhsa_exception_fp_ieee_overflow 0
		.amdhsa_exception_fp_ieee_underflow 0
		.amdhsa_exception_fp_ieee_inexact 0
		.amdhsa_exception_int_div_zero 0
	.end_amdhsa_kernel
	.section	.text._ZN9rocsolver6v33100L22larf_left_kernel_smallILi512EfiPfEEvT1_S3_T2_lS3_lPKT0_lS4_lS3_l,"axG",@progbits,_ZN9rocsolver6v33100L22larf_left_kernel_smallILi512EfiPfEEvT1_S3_T2_lS3_lPKT0_lS4_lS3_l,comdat
.Lfunc_end3:
	.size	_ZN9rocsolver6v33100L22larf_left_kernel_smallILi512EfiPfEEvT1_S3_T2_lS3_lPKT0_lS4_lS3_l, .Lfunc_end3-_ZN9rocsolver6v33100L22larf_left_kernel_smallILi512EfiPfEEvT1_S3_T2_lS3_lPKT0_lS4_lS3_l
                                        ; -- End function
	.set _ZN9rocsolver6v33100L22larf_left_kernel_smallILi512EfiPfEEvT1_S3_T2_lS3_lPKT0_lS4_lS3_l.num_vgpr, 38
	.set _ZN9rocsolver6v33100L22larf_left_kernel_smallILi512EfiPfEEvT1_S3_T2_lS3_lPKT0_lS4_lS3_l.num_agpr, 0
	.set _ZN9rocsolver6v33100L22larf_left_kernel_smallILi512EfiPfEEvT1_S3_T2_lS3_lPKT0_lS4_lS3_l.numbered_sgpr, 57
	.set _ZN9rocsolver6v33100L22larf_left_kernel_smallILi512EfiPfEEvT1_S3_T2_lS3_lPKT0_lS4_lS3_l.num_named_barrier, 0
	.set _ZN9rocsolver6v33100L22larf_left_kernel_smallILi512EfiPfEEvT1_S3_T2_lS3_lPKT0_lS4_lS3_l.private_seg_size, 0
	.set _ZN9rocsolver6v33100L22larf_left_kernel_smallILi512EfiPfEEvT1_S3_T2_lS3_lPKT0_lS4_lS3_l.uses_vcc, 1
	.set _ZN9rocsolver6v33100L22larf_left_kernel_smallILi512EfiPfEEvT1_S3_T2_lS3_lPKT0_lS4_lS3_l.uses_flat_scratch, 0
	.set _ZN9rocsolver6v33100L22larf_left_kernel_smallILi512EfiPfEEvT1_S3_T2_lS3_lPKT0_lS4_lS3_l.has_dyn_sized_stack, 0
	.set _ZN9rocsolver6v33100L22larf_left_kernel_smallILi512EfiPfEEvT1_S3_T2_lS3_lPKT0_lS4_lS3_l.has_recursion, 0
	.set _ZN9rocsolver6v33100L22larf_left_kernel_smallILi512EfiPfEEvT1_S3_T2_lS3_lPKT0_lS4_lS3_l.has_indirect_call, 0
	.section	.AMDGPU.csdata,"",@progbits
; Kernel info:
; codeLenInByte = 3228
; TotalNumSgprs: 63
; NumVgprs: 38
; NumAgprs: 0
; TotalNumVgprs: 38
; ScratchSize: 0
; MemoryBound: 0
; FloatMode: 240
; IeeeMode: 1
; LDSByteSize: 10240 bytes/workgroup (compile time only)
; SGPRBlocks: 7
; VGPRBlocks: 4
; NumSGPRsForWavesPerEU: 63
; NumVGPRsForWavesPerEU: 38
; AccumOffset: 40
; Occupancy: 8
; WaveLimiterHint : 1
; COMPUTE_PGM_RSRC2:SCRATCH_EN: 0
; COMPUTE_PGM_RSRC2:USER_SGPR: 2
; COMPUTE_PGM_RSRC2:TRAP_HANDLER: 0
; COMPUTE_PGM_RSRC2:TGID_X_EN: 1
; COMPUTE_PGM_RSRC2:TGID_Y_EN: 1
; COMPUTE_PGM_RSRC2:TGID_Z_EN: 0
; COMPUTE_PGM_RSRC2:TIDIG_COMP_CNT: 0
; COMPUTE_PGM_RSRC3_GFX90A:ACCUM_OFFSET: 9
; COMPUTE_PGM_RSRC3_GFX90A:TG_SPLIT: 0
	.section	.text._ZN9rocsolver6v33100L22larf_left_kernel_smallILi1024EfiPfEEvT1_S3_T2_lS3_lPKT0_lS4_lS3_l,"axG",@progbits,_ZN9rocsolver6v33100L22larf_left_kernel_smallILi1024EfiPfEEvT1_S3_T2_lS3_lPKT0_lS4_lS3_l,comdat
	.globl	_ZN9rocsolver6v33100L22larf_left_kernel_smallILi1024EfiPfEEvT1_S3_T2_lS3_lPKT0_lS4_lS3_l ; -- Begin function _ZN9rocsolver6v33100L22larf_left_kernel_smallILi1024EfiPfEEvT1_S3_T2_lS3_lPKT0_lS4_lS3_l
	.p2align	8
	.type	_ZN9rocsolver6v33100L22larf_left_kernel_smallILi1024EfiPfEEvT1_S3_T2_lS3_lPKT0_lS4_lS3_l,@function
_ZN9rocsolver6v33100L22larf_left_kernel_smallILi1024EfiPfEEvT1_S3_T2_lS3_lPKT0_lS4_lS3_l: ; @_ZN9rocsolver6v33100L22larf_left_kernel_smallILi1024EfiPfEEvT1_S3_T2_lS3_lPKT0_lS4_lS3_l
; %bb.0:
	s_load_dwordx2 s[28:29], s[0:1], 0x0
	s_load_dwordx8 s[20:27], s[0:1], 0x20
	s_load_dwordx2 s[8:9], s[0:1], 0x40
	s_ashr_i32 s30, s2, 31
	s_waitcnt lgkmcnt(0)
	v_cmp_gt_i32_e64 s[18:19], s28, v0
	v_xad_u32 v4, v0, -1, s28
	s_and_saveexec_b64 s[10:11], s[18:19]
	s_cbranch_execz .LBB4_17
; %bb.1:
	s_load_dwordx4 s[4:7], s[0:1], 0x8
	s_load_dword s31, s[0:1], 0x18
	s_mul_i32 s12, s20, s30
	s_mul_hi_u32 s13, s20, s2
	s_add_i32 s12, s13, s12
	s_mul_i32 s13, s21, s2
	s_add_i32 s13, s12, s13
	s_mul_i32 s12, s20, s2
	s_lshl_b64 s[12:13], s[12:13], 2
	s_waitcnt lgkmcnt(0)
	s_add_u32 s12, s4, s12
	s_addc_u32 s13, s5, s13
	s_lshl_b64 s[4:5], s[6:7], 2
	s_add_u32 s12, s12, s4
	s_addc_u32 s13, s13, s5
	s_sub_i32 s4, 1, s28
	s_mul_i32 s4, s31, s4
	s_cmp_lt_i32 s31, 1
	s_cselect_b32 s20, s4, 0
	s_movk_i32 s4, 0x5bff
	v_cmp_lt_u32_e32 vcc, s4, v4
	s_mov_b64 s[4:5], 0
                                        ; implicit-def: $vgpr1
                                        ; implicit-def: $vgpr5
	s_and_saveexec_b64 s[6:7], vcc
	s_xor_b64 s[14:15], exec, s[6:7]
	s_cbranch_execnz .LBB4_4
; %bb.2:
	s_andn2_saveexec_b64 s[6:7], s[14:15]
	s_cbranch_execnz .LBB4_14
.LBB4_3:
	s_or_b64 exec, exec, s[6:7]
	s_and_b64 exec, exec, s[4:5]
	s_cbranch_execnz .LBB4_15
	s_branch .LBB4_17
.LBB4_4:
	s_lshl_b32 s21, s31, 10
	s_sub_i32 s6, 0, s21
	s_cmp_lt_i32 s21, 0
	s_cselect_b64 vcc, -1, 0
	s_and_b64 s[4:5], vcc, exec
	v_lshrrev_b32_e32 v5, 10, v4
	s_cselect_b32 s6, s6, s21
	v_mul_lo_u32 v1, v0, s31
	v_mul_hi_u32 v2, s6, v5
	v_add_u32_e32 v1, s20, v1
	v_cmp_eq_u32_e64 s[4:5], 0, v2
	v_mul_lo_u32 v2, s6, v5
	v_add_u32_e32 v3, v1, v2
	v_sub_u32_e32 v2, v1, v2
	v_cmp_gt_i32_e64 s[6:7], v2, v1
	s_nop 1
	v_cndmask_b32_e64 v2, 0, 1, s[6:7]
	v_cmp_lt_i32_e64 s[6:7], v3, v1
	s_nop 1
	v_cndmask_b32_e64 v1, 0, 1, s[6:7]
	v_cndmask_b32_e32 v1, v1, v2, vcc
	v_and_b32_e32 v1, 1, v1
	v_cmp_eq_u32_e32 vcc, 1, v1
	s_xor_b64 s[16:17], vcc, -1
	s_mov_b64 s[6:7], -1
	s_and_b64 s[16:17], s[16:17], s[4:5]
	v_mov_b32_e32 v1, v0
	s_and_saveexec_b64 s[4:5], s[16:17]
	s_cbranch_execz .LBB4_13
; %bb.5:
	v_add_u32_e32 v2, -1, v5
	v_or_b32_e32 v1, 0x400, v0
	v_lshrrev_b32_e32 v3, 1, v2
	s_mov_b32 s33, 0
	v_add_u32_e32 v6, 1, v3
	v_cmp_lt_u32_e32 vcc, 5, v2
	v_mov_b32_e32 v9, 0
	v_mov_b64_e32 v[2:3], v[0:1]
	s_and_saveexec_b64 s[6:7], vcc
	s_cbranch_execz .LBB4_9
; %bb.6:
	v_and_b32_e32 v7, -4, v6
	v_lshlrev_b32_e32 v8, 2, v0
	s_mov_b64 s[16:17], 0
	v_mov_b64_e32 v[2:3], v[0:1]
.LBB4_7:                                ; =>This Inner Loop Header: Depth=1
	v_mul_lo_u32 v1, v3, s31
	v_mul_lo_u32 v9, v2, s31
	v_add_u32_e32 v11, 0x800, v2
	v_add_u32_e32 v13, 0x800, v3
	;; [unrolled: 1-line block ×8, first 2 shown]
	v_mul_lo_u32 v1, v13, s31
	v_mul_lo_u32 v9, v11, s31
	;; [unrolled: 1-line block ×6, first 2 shown]
	v_ashrrev_i32_e32 v11, 31, v10
	v_add_u32_e32 v14, s20, v9
	v_add_u32_e32 v16, s20, v1
	;; [unrolled: 1-line block ×6, first 2 shown]
	v_ashrrev_i32_e32 v13, 31, v12
	v_lshl_add_u64 v[10:11], v[10:11], 2, s[12:13]
	v_ashrrev_i32_e32 v17, 31, v16
	v_ashrrev_i32_e32 v15, 31, v14
	;; [unrolled: 1-line block ×6, first 2 shown]
	v_lshl_add_u64 v[12:13], v[12:13], 2, s[12:13]
	v_lshl_add_u64 v[14:15], v[14:15], 2, s[12:13]
	;; [unrolled: 1-line block ×7, first 2 shown]
	global_load_dword v1, v[10:11], off
	global_load_dword v26, v[12:13], off
	;; [unrolled: 1-line block ×8, first 2 shown]
	v_add_u32_e32 v7, -4, v7
	s_add_i32 s33, s33, 8
	v_cmp_eq_u32_e32 vcc, 0, v7
	v_add_u32_e32 v3, 0x2000, v3
	v_add_u32_e32 v2, 0x2000, v2
	v_mov_b32_e32 v9, s33
	s_or_b64 s[16:17], vcc, s[16:17]
	s_waitcnt vmcnt(6)
	ds_write2st64_b32 v8, v1, v26 offset1:16
	s_waitcnt vmcnt(4)
	ds_write2st64_b32 v8, v27, v28 offset0:32 offset1:48
	s_waitcnt vmcnt(2)
	ds_write2st64_b32 v8, v29, v30 offset0:64 offset1:80
	;; [unrolled: 2-line block ×3, first 2 shown]
	v_add_u32_e32 v8, 0x8000, v8
	s_andn2_b64 exec, exec, s[16:17]
	s_cbranch_execnz .LBB4_7
; %bb.8:
	s_or_b64 exec, exec, s[16:17]
.LBB4_9:
	s_or_b64 exec, exec, s[6:7]
	v_and_b32_e32 v1, 3, v6
	v_cmp_ne_u32_e32 vcc, 0, v1
	s_and_saveexec_b64 s[6:7], vcc
	s_cbranch_execz .LBB4_12
; %bb.10:
	v_lshlrev_b32_e32 v6, 2, v0
	v_lshl_or_b32 v6, v9, 12, v6
	s_mov_b64 s[16:17], 0
.LBB4_11:                               ; =>This Inner Loop Header: Depth=1
	v_mul_lo_u32 v8, v2, s31
	v_mul_lo_u32 v7, v3, s31
	v_add_u32_e32 v8, s20, v8
	v_add_u32_e32 v10, s20, v7
	v_ashrrev_i32_e32 v9, 31, v8
	v_ashrrev_i32_e32 v11, 31, v10
	v_lshl_add_u64 v[8:9], v[8:9], 2, s[12:13]
	v_lshl_add_u64 v[10:11], v[10:11], 2, s[12:13]
	global_load_dword v7, v[8:9], off
	global_load_dword v12, v[10:11], off
	v_add_u32_e32 v1, -1, v1
	v_cmp_eq_u32_e32 vcc, 0, v1
	v_add_u32_e32 v3, 0x800, v3
	v_add_u32_e32 v2, 0x800, v2
	s_or_b64 s[16:17], vcc, s[16:17]
	s_waitcnt vmcnt(0)
	ds_write2st64_b32 v6, v7, v12 offset1:16
	v_add_u32_e32 v6, 0x2000, v6
	s_andn2_b64 exec, exec, s[16:17]
	s_cbranch_execnz .LBB4_11
.LBB4_12:
	s_or_b64 exec, exec, s[6:7]
	v_add_u32_e32 v2, 1, v5
	v_and_b32_e32 v3, 0x7ffffe, v2
	v_cmp_ne_u32_e32 vcc, v2, v3
	v_lshl_or_b32 v1, v3, 10, v0
	s_orn2_b64 s[6:7], vcc, exec
.LBB4_13:
	s_or_b64 exec, exec, s[4:5]
	v_mov_b32_e32 v5, s21
	s_and_b64 s[4:5], s[6:7], exec
	s_andn2_saveexec_b64 s[6:7], s[14:15]
	s_cbranch_execz .LBB4_3
.LBB4_14:
	s_lshl_b32 s14, s31, 10
	v_mov_b32_e32 v5, s14
	s_or_b64 s[4:5], s[4:5], exec
	v_mov_b32_e32 v1, v0
	s_or_b64 exec, exec, s[6:7]
	s_and_b64 exec, exec, s[4:5]
	s_cbranch_execz .LBB4_17
.LBB4_15:
	v_mul_lo_u32 v2, v1, s31
	v_add_u32_e32 v2, s20, v2
	v_lshlrev_b32_e32 v6, 2, v1
	s_mov_b64 s[4:5], 0
.LBB4_16:                               ; =>This Inner Loop Header: Depth=1
	v_ashrrev_i32_e32 v3, 31, v2
	v_lshl_add_u64 v[8:9], v[2:3], 2, s[12:13]
	global_load_dword v3, v[8:9], off
	v_add_u32_e32 v1, 0x400, v1
	v_cmp_le_i32_e32 vcc, s28, v1
	v_add_u32_e32 v2, v2, v5
	s_or_b64 s[4:5], vcc, s[4:5]
	s_waitcnt vmcnt(0)
	ds_write_b32 v6, v3
	v_add_u32_e32 v6, 0x1000, v6
	s_andn2_b64 exec, exec, s[4:5]
	s_cbranch_execnz .LBB4_16
.LBB4_17:
	s_or_b64 exec, exec, s[10:11]
	s_cmp_ge_i32 s3, s29
	s_waitcnt lgkmcnt(0)
	s_barrier
	s_cbranch_scc1 .LBB4_55
; %bb.18:
	s_load_dwordx2 s[4:5], s[0:1], 0x50
	s_load_dword s33, s[0:1], 0x48
	v_and_b32_e32 v1, 63, v0
	v_lshrrev_b32_e32 v14, 4, v0
	v_mov_b32_e32 v18, 0x2004
	s_waitcnt lgkmcnt(0)
	s_mul_i32 s1, s4, s30
	s_mul_hi_u32 s6, s4, s2
	s_mul_i32 s5, s5, s2
	s_add_i32 s1, s6, s1
	s_mul_i32 s0, s4, s2
	s_add_i32 s1, s1, s5
	s_lshl_b64 s[34:35], s[0:1], 2
	s_add_u32 s0, s26, s34
	s_addc_u32 s1, s27, s35
	s_lshl_b64 s[36:37], s[8:9], 2
	s_add_u32 s20, s0, s36
	s_addc_u32 s21, s1, s37
	s_mul_i32 s0, s24, s30
	s_mul_hi_u32 s1, s24, s2
	s_add_i32 s0, s1, s0
	s_mul_i32 s1, s25, s2
	s_add_i32 s1, s0, s1
	s_mul_i32 s0, s24, s2
	s_lshl_b64 s[0:1], s[0:1], 2
	s_add_u32 s22, s22, s0
	s_addc_u32 s23, s23, s1
	s_movk_i32 s2, 0x1bff
	s_cmp_gt_i32 s28, 1
	v_cmp_eq_u32_e64 s[0:1], 0, v1
	v_lshrrev_b32_e32 v1, 10, v4
	v_cmp_lt_u32_e64 s[8:9], s2, v4
	s_movk_i32 s2, 0x3ff
	s_cselect_b64 s[24:25], -1, 0
	v_add_u32_e32 v3, -1, v1
	v_cmp_lt_u32_e64 s[10:11], s2, v4
	s_add_u32 s2, s34, s36
	v_add_u32_e32 v2, 1, v1
	v_lshrrev_b32_e32 v1, 1, v3
	s_addc_u32 s30, s35, s37
	v_add_u32_e32 v5, 1, v1
	v_and_b32_e32 v4, 0x7ffffe, v2
	s_add_u32 s26, s26, s2
	v_lshl_or_b32 v15, v4, 10, v0
	v_and_b32_e32 v16, 3, v5
	v_and_b32_e32 v17, -4, v5
	v_cmp_ne_u32_e64 s[16:17], v2, v4
	v_mov_b32_e32 v5, 0
	s_addc_u32 s27, s27, s30
	s_lshl_b32 s2, s33, 6
	v_mbcnt_lo_u32_b32 v4, -1, 0
	v_and_b32_e32 v8, 7, v2
	v_cmp_lt_u32_e64 s[12:13], 5, v3
	v_lshlrev_b32_e32 v2, 2, v0
	v_mov_b32_e32 v3, v5
	s_add_u32 s48, s26, 0x7000
	v_mbcnt_hi_u32_b32 v25, -1, v4
	v_mov_b32_e32 v4, 0x80
	v_cmp_eq_u32_e64 s[4:5], 0, v0
	v_cmp_ne_u32_e64 s[6:7], 0, v8
	v_or_b32_e32 v1, 0x400, v0
	v_cmp_ne_u32_e64 s[14:15], 0, v16
	v_lshl_add_u64 v[6:7], s[26:27], 0, v[2:3]
	s_mul_i32 s30, s3, s33
	v_lshlrev_b32_e32 v3, 2, v8
	s_addc_u32 s49, s27, 0
	s_mov_b64 s[34:35], 0x1000
	s_mov_b64 s[36:37], 0x8000
	v_mov_b32_e32 v19, 0x200c
	v_mov_b32_e32 v20, 0x2014
	;; [unrolled: 1-line block ×6, first 2 shown]
	v_and_b32_e32 v26, 63, v25
	v_lshl_or_b32 v27, v25, 2, v4
	s_branch .LBB4_20
.LBB4_19:                               ;   in Loop: Header=BB4_20 Depth=1
	s_or_b64 exec, exec, s[40:41]
	s_add_i32 s3, s3, 64
	s_add_i32 s30, s30, s2
	s_cmp_ge_i32 s3, s29
	s_cbranch_scc1 .LBB4_55
.LBB4_20:                               ; =>This Loop Header: Depth=1
                                        ;     Child Loop BB4_23 Depth 2
                                        ;     Child Loop BB4_27 Depth 2
	;; [unrolled: 1-line block ×5, first 2 shown]
	s_ashr_i32 s31, s30, 31
	s_lshl_b64 s[38:39], s[30:31], 2
	v_mov_b32_e32 v10, 0
	s_and_saveexec_b64 s[40:41], s[18:19]
	s_cbranch_execz .LBB4_30
; %bb.21:                               ;   in Loop: Header=BB4_20 Depth=1
	v_mov_b32_e32 v10, 0
	v_mov_b32_e32 v4, v0
	s_and_saveexec_b64 s[42:43], s[6:7]
	s_cbranch_execz .LBB4_25
; %bb.22:                               ;   in Loop: Header=BB4_20 Depth=1
	v_lshl_add_u64 v[8:9], v[6:7], 0, s[38:39]
	v_mov_b32_e32 v10, 0
	s_mov_b64 s[44:45], 0
	v_mov_b32_e32 v11, v3
	v_mov_b32_e32 v12, v2
	;; [unrolled: 1-line block ×3, first 2 shown]
.LBB4_23:                               ;   Parent Loop BB4_20 Depth=1
                                        ; =>  This Inner Loop Header: Depth=2
	global_load_dword v13, v[8:9], off
	ds_read_b32 v28, v12
	v_add_u32_e32 v11, -4, v11
	v_cmp_eq_u32_e32 vcc, 0, v11
	v_add_u32_e32 v4, 0x400, v4
	v_add_u32_e32 v12, 0x1000, v12
	v_lshl_add_u64 v[8:9], v[8:9], 0, s[34:35]
	s_or_b64 s[44:45], vcc, s[44:45]
	s_waitcnt vmcnt(0) lgkmcnt(0)
	v_fmac_f32_e32 v10, v28, v13
	s_andn2_b64 exec, exec, s[44:45]
	s_cbranch_execnz .LBB4_23
; %bb.24:                               ;   in Loop: Header=BB4_20 Depth=1
	s_or_b64 exec, exec, s[44:45]
.LBB4_25:                               ;   in Loop: Header=BB4_20 Depth=1
	s_or_b64 exec, exec, s[42:43]
	s_and_saveexec_b64 s[42:43], s[8:9]
	s_cbranch_execz .LBB4_29
; %bb.26:                               ;   in Loop: Header=BB4_20 Depth=1
	s_add_u32 s44, s48, s38
	s_addc_u32 s45, s49, s39
	v_lshl_add_u64 v[8:9], v[4:5], 2, s[44:45]
	v_lshlrev_b32_e32 v11, 2, v4
	s_mov_b64 s[44:45], 0
.LBB4_27:                               ;   Parent Loop BB4_20 Depth=1
                                        ; =>  This Inner Loop Header: Depth=2
	v_add_co_u32_e32 v12, vcc, 0xffff9000, v8
	v_add_u32_e32 v4, 0x2000, v4
	s_nop 0
	v_addc_co_u32_e32 v13, vcc, -1, v9, vcc
	v_add_co_u32_e32 v28, vcc, 0xffffa000, v8
	s_nop 1
	v_addc_co_u32_e32 v29, vcc, -1, v9, vcc
	v_add_co_u32_e32 v30, vcc, 0xffffb000, v8
	global_load_dword v34, v[12:13], off
	global_load_dword v35, v[28:29], off
	v_addc_co_u32_e32 v31, vcc, -1, v9, vcc
	v_add_co_u32_e32 v12, vcc, 0xffffc000, v8
	s_nop 1
	v_addc_co_u32_e32 v13, vcc, -1, v9, vcc
	global_load_dword v36, v[30:31], off
	global_load_dword v37, v[12:13], off
	v_add_co_u32_e32 v28, vcc, 0xffffd000, v8
	s_nop 1
	v_addc_co_u32_e32 v29, vcc, -1, v9, vcc
	v_add_co_u32_e32 v12, vcc, 0xffffe000, v8
	s_nop 1
	v_addc_co_u32_e32 v13, vcc, -1, v9, vcc
	global_load_dword v38, v[28:29], off
	global_load_dword v39, v[12:13], off
	global_load_dword v40, v[8:9], off offset:-4096
	global_load_dword v41, v[8:9], off
	ds_read2st64_b32 v[12:13], v11 offset1:16
	ds_read2st64_b32 v[28:29], v11 offset0:32 offset1:48
	ds_read2st64_b32 v[30:31], v11 offset0:64 offset1:80
	;; [unrolled: 1-line block ×3, first 2 shown]
	v_cmp_le_i32_e32 vcc, s28, v4
	v_add_u32_e32 v11, 0x8000, v11
	s_or_b64 s[44:45], vcc, s[44:45]
	v_lshl_add_u64 v[8:9], v[8:9], 0, s[36:37]
	s_waitcnt vmcnt(7) lgkmcnt(3)
	v_fmac_f32_e32 v10, v12, v34
	s_waitcnt vmcnt(6)
	v_fmac_f32_e32 v10, v13, v35
	s_waitcnt vmcnt(5) lgkmcnt(2)
	v_fmac_f32_e32 v10, v28, v36
	s_waitcnt vmcnt(4)
	v_fmac_f32_e32 v10, v29, v37
	;; [unrolled: 4-line block ×4, first 2 shown]
	s_andn2_b64 exec, exec, s[44:45]
	s_cbranch_execnz .LBB4_27
; %bb.28:                               ;   in Loop: Header=BB4_20 Depth=1
	s_or_b64 exec, exec, s[44:45]
.LBB4_29:                               ;   in Loop: Header=BB4_20 Depth=1
	s_or_b64 exec, exec, s[42:43]
.LBB4_30:                               ;   in Loop: Header=BB4_20 Depth=1
	s_or_b64 exec, exec, s[40:41]
	s_and_b64 vcc, exec, s[24:25]
	s_cbranch_vccz .LBB4_37
; %bb.31:                               ;   in Loop: Header=BB4_20 Depth=1
	v_cmp_ne_u32_e32 vcc, 63, v26
	s_nop 1
	v_addc_co_u32_e32 v4, vcc, 0, v25, vcc
	v_lshlrev_b32_e32 v4, 2, v4
	ds_bpermute_b32 v4, v4, v10
	v_cmp_gt_u32_e32 vcc, 62, v26
	s_waitcnt lgkmcnt(0)
	v_add_f32_e32 v4, v10, v4
	v_cndmask_b32_e64 v8, 0, 2, vcc
	v_add_lshl_u32 v8, v8, v25, 2
	ds_bpermute_b32 v8, v8, v4
	v_cmp_gt_u32_e32 vcc, 60, v26
	s_waitcnt lgkmcnt(0)
	v_add_f32_e32 v4, v4, v8
	v_cndmask_b32_e64 v9, 0, 4, vcc
	v_add_lshl_u32 v9, v9, v25, 2
	;; [unrolled: 6-line block ×4, first 2 shown]
	ds_bpermute_b32 v8, v8, v4
	s_waitcnt lgkmcnt(0)
	v_add_f32_e32 v4, v4, v8
	ds_bpermute_b32 v8, v27, v4
	s_waitcnt lgkmcnt(0)
	v_add_f32_e32 v4, v4, v8
	s_and_saveexec_b64 s[40:41], s[0:1]
; %bb.32:                               ;   in Loop: Header=BB4_20 Depth=1
	ds_write_b32 v14, v4 offset:8192
; %bb.33:                               ;   in Loop: Header=BB4_20 Depth=1
	s_or_b64 exec, exec, s[40:41]
	s_mov_b64 s[42:43], 0
	s_mov_b64 s[40:41], 0
	s_waitcnt lgkmcnt(0)
	s_barrier
                                        ; implicit-def: $vgpr8
	s_and_saveexec_b64 s[44:45], s[4:5]
	s_xor_b64 s[44:45], exec, s[44:45]
	s_cbranch_execz .LBB4_35
; %bb.34:                               ;   in Loop: Header=BB4_20 Depth=1
	ds_read2_b32 v[8:9], v18 offset1:1
	ds_read2_b32 v[12:13], v19 offset1:1
	;; [unrolled: 1-line block ×4, first 2 shown]
	s_mov_b64 s[40:41], exec
	s_waitcnt lgkmcnt(3)
	v_add_f32_e32 v4, v4, v8
	v_add_f32_e32 v4, v4, v9
	s_waitcnt lgkmcnt(2)
	v_add_f32_e32 v4, v4, v12
	v_add_f32_e32 v4, v4, v13
	ds_read2_b32 v[8:9], v22 offset1:1
	s_waitcnt lgkmcnt(2)
	v_add_f32_e32 v4, v4, v28
	v_add_f32_e32 v4, v4, v29
	s_waitcnt lgkmcnt(1)
	v_add_f32_e32 v4, v4, v30
	v_add_f32_e32 v4, v4, v31
	ds_read2_b32 v[12:13], v23 offset1:1
	ds_read2_b32 v[28:29], v24 offset1:1
	ds_read_b32 v11, v5 offset:8252
	s_waitcnt lgkmcnt(3)
	v_add_f32_e32 v4, v4, v8
	v_add_f32_e32 v4, v4, v9
	s_waitcnt lgkmcnt(2)
	v_add_f32_e32 v4, v4, v12
	v_add_f32_e32 v4, v4, v13
	;; [unrolled: 3-line block ×3, first 2 shown]
	s_waitcnt lgkmcnt(0)
	v_add_f32_e32 v8, v4, v11
.LBB4_35:                               ;   in Loop: Header=BB4_20 Depth=1
	s_or_b64 exec, exec, s[44:45]
	s_and_b64 vcc, exec, s[42:43]
	s_cbranch_vccnz .LBB4_38
.LBB4_36:                               ;   in Loop: Header=BB4_20 Depth=1
	v_mov_b32_e32 v10, v8
	s_and_saveexec_b64 s[42:43], s[40:41]
	s_cbranch_execnz .LBB4_39
	s_branch .LBB4_40
.LBB4_37:                               ;   in Loop: Header=BB4_20 Depth=1
	s_mov_b64 s[40:41], 0
                                        ; implicit-def: $vgpr8
	s_cbranch_execz .LBB4_36
.LBB4_38:                               ;   in Loop: Header=BB4_20 Depth=1
	s_andn2_b64 s[40:41], s[40:41], exec
	s_and_b64 s[42:43], s[4:5], exec
	s_or_b64 s[40:41], s[40:41], s[42:43]
	s_and_saveexec_b64 s[42:43], s[40:41]
.LBB4_39:                               ;   in Loop: Header=BB4_20 Depth=1
	ds_write_b32 v5, v10 offset:8192
.LBB4_40:                               ;   in Loop: Header=BB4_20 Depth=1
	s_or_b64 exec, exec, s[42:43]
	s_waitcnt lgkmcnt(0)
	s_barrier
	s_and_saveexec_b64 s[40:41], s[18:19]
	s_cbranch_execz .LBB4_19
; %bb.41:                               ;   in Loop: Header=BB4_20 Depth=1
	global_load_dword v4, v5, s[22:23]
	ds_read_b32 v8, v5 offset:8192
	s_mov_b64 s[44:45], -1
	v_mov_b32_e32 v10, v0
	s_waitcnt vmcnt(0) lgkmcnt(0)
	v_mul_f32_e64 v8, v8, -v4
	v_mov_b32_e32 v4, v2
	s_and_saveexec_b64 s[42:43], s[10:11]
	s_cbranch_execz .LBB4_52
; %bb.42:                               ;   in Loop: Header=BB4_20 Depth=1
	s_mul_i32 s31, s3, s33
	v_mov_b32_e32 v9, v8
	v_mov_b32_e32 v13, 0
	v_mov_b64_e32 v[10:11], v[0:1]
	s_and_saveexec_b64 s[44:45], s[12:13]
	s_cbranch_execz .LBB4_46
; %bb.43:                               ;   in Loop: Header=BB4_20 Depth=1
	s_add_i32 s50, s31, 0x800
	s_add_i32 s52, s31, 0x1000
	;; [unrolled: 1-line block ×3, first 2 shown]
	s_mov_b32 s51, s50
	s_mov_b32 s53, s52
	;; [unrolled: 1-line block ×4, first 2 shown]
	s_mov_b64 s[46:47], 0
	v_mov_b32_e32 v4, v17
	v_mov_b32_e32 v12, v2
	v_mov_b64_e32 v[10:11], v[0:1]
.LBB4_44:                               ;   Parent Loop BB4_20 Depth=1
                                        ; =>  This Inner Loop Header: Depth=2
	v_add_u32_e32 v28, s31, v10
	v_add_u32_e32 v30, s31, v11
	v_ashrrev_i32_e32 v29, 31, v28
	v_ashrrev_i32_e32 v31, 31, v30
	v_lshl_add_u64 v[28:29], v[28:29], 2, s[20:21]
	v_lshl_add_u64 v[30:31], v[30:31], 2, s[20:21]
	global_load_dword v32, v[28:29], off
	global_load_dword v33, v[30:31], off
	ds_read2st64_b32 v[34:35], v12 offset1:16
	v_add_u32_e32 v36, s50, v10
	v_add_u32_e32 v38, s51, v11
	v_ashrrev_i32_e32 v37, 31, v36
	v_ashrrev_i32_e32 v39, 31, v38
	v_lshl_add_u64 v[36:37], v[36:37], 2, s[20:21]
	v_lshl_add_u64 v[38:39], v[38:39], 2, s[20:21]
	v_add_u32_e32 v4, -4, v4
	s_add_i32 s56, s56, 8
	v_cmp_eq_u32_e32 vcc, 0, v4
	v_mov_b32_e32 v13, s56
	s_or_b64 s[46:47], vcc, s[46:47]
	s_waitcnt vmcnt(0) lgkmcnt(0)
	v_pk_fma_f32 v[32:33], v[8:9], v[34:35], v[32:33]
	global_store_dword v[28:29], v32, off
	global_store_dword v[30:31], v33, off
	global_load_dword v28, v[36:37], off
	s_nop 0
	global_load_dword v29, v[38:39], off
	ds_read2st64_b32 v[30:31], v12 offset0:32 offset1:48
	v_add_u32_e32 v32, s52, v10
	v_add_u32_e32 v34, s53, v11
	v_ashrrev_i32_e32 v33, 31, v32
	v_ashrrev_i32_e32 v35, 31, v34
	v_lshl_add_u64 v[32:33], v[32:33], 2, s[20:21]
	v_lshl_add_u64 v[34:35], v[34:35], 2, s[20:21]
	s_waitcnt vmcnt(0) lgkmcnt(0)
	v_pk_fma_f32 v[28:29], v[8:9], v[30:31], v[28:29]
	global_store_dword v[36:37], v28, off
	global_store_dword v[38:39], v29, off
	global_load_dword v28, v[32:33], off
	s_nop 0
	global_load_dword v29, v[34:35], off
	ds_read2st64_b32 v[30:31], v12 offset0:64 offset1:80
	v_add_u32_e32 v36, s54, v10
	v_add_u32_e32 v38, s55, v11
	v_ashrrev_i32_e32 v37, 31, v36
	v_ashrrev_i32_e32 v39, 31, v38
	v_lshl_add_u64 v[36:37], v[36:37], 2, s[20:21]
	v_lshl_add_u64 v[38:39], v[38:39], 2, s[20:21]
	v_add_u32_e32 v11, 0x2000, v11
	v_add_u32_e32 v10, 0x2000, v10
	s_waitcnt vmcnt(0) lgkmcnt(0)
	v_pk_fma_f32 v[28:29], v[8:9], v[30:31], v[28:29]
	global_store_dword v[32:33], v28, off
	global_store_dword v[34:35], v29, off
	global_load_dword v28, v[36:37], off
	s_nop 0
	global_load_dword v29, v[38:39], off
	ds_read2st64_b32 v[30:31], v12 offset0:96 offset1:112
	v_add_u32_e32 v12, 0x8000, v12
	s_waitcnt vmcnt(0) lgkmcnt(0)
	v_pk_fma_f32 v[28:29], v[8:9], v[30:31], v[28:29]
	global_store_dword v[36:37], v28, off
	global_store_dword v[38:39], v29, off
	s_andn2_b64 exec, exec, s[46:47]
	s_cbranch_execnz .LBB4_44
; %bb.45:                               ;   in Loop: Header=BB4_20 Depth=1
	s_or_b64 exec, exec, s[46:47]
.LBB4_46:                               ;   in Loop: Header=BB4_20 Depth=1
	s_or_b64 exec, exec, s[44:45]
	s_and_saveexec_b64 s[44:45], s[14:15]
	s_cbranch_execz .LBB4_49
; %bb.47:                               ;   in Loop: Header=BB4_20 Depth=1
	v_lshl_or_b32 v4, v13, 12, v2
	s_mov_b64 s[46:47], 0
	v_mov_b32_e32 v12, v16
.LBB4_48:                               ;   Parent Loop BB4_20 Depth=1
                                        ; =>  This Inner Loop Header: Depth=2
	v_add_u32_e32 v28, s31, v10
	v_add_u32_e32 v30, s31, v11
	v_ashrrev_i32_e32 v29, 31, v28
	v_ashrrev_i32_e32 v31, 31, v30
	v_lshl_add_u64 v[28:29], v[28:29], 2, s[20:21]
	v_lshl_add_u64 v[30:31], v[30:31], 2, s[20:21]
	global_load_dword v32, v[28:29], off
	global_load_dword v33, v[30:31], off
	ds_read2st64_b32 v[34:35], v4 offset1:16
	v_add_u32_e32 v12, -1, v12
	v_cmp_eq_u32_e32 vcc, 0, v12
	v_add_u32_e32 v11, 0x800, v11
	v_add_u32_e32 v10, 0x800, v10
	v_add_u32_e32 v4, 0x2000, v4
	s_or_b64 s[46:47], vcc, s[46:47]
	s_waitcnt vmcnt(0) lgkmcnt(0)
	v_pk_fma_f32 v[32:33], v[8:9], v[34:35], v[32:33]
	global_store_dword v[28:29], v32, off
	global_store_dword v[30:31], v33, off
	s_andn2_b64 exec, exec, s[46:47]
	s_cbranch_execnz .LBB4_48
.LBB4_49:                               ;   in Loop: Header=BB4_20 Depth=1
	s_or_b64 exec, exec, s[44:45]
	s_mov_b64 s[44:45], 0
                                        ; implicit-def: $vgpr4
	s_and_saveexec_b64 s[46:47], s[16:17]
; %bb.50:                               ;   in Loop: Header=BB4_20 Depth=1
	s_mov_b64 s[44:45], exec
	v_lshlrev_b32_e32 v4, 2, v15
; %bb.51:                               ;   in Loop: Header=BB4_20 Depth=1
	s_or_b64 exec, exec, s[46:47]
	s_orn2_b64 s[44:45], s[44:45], exec
	v_mov_b32_e32 v10, v15
.LBB4_52:                               ;   in Loop: Header=BB4_20 Depth=1
	s_or_b64 exec, exec, s[42:43]
	s_and_b64 exec, exec, s[44:45]
	s_cbranch_execz .LBB4_19
; %bb.53:                               ;   in Loop: Header=BB4_20 Depth=1
	s_add_u32 s38, s26, s38
	v_ashrrev_i32_e32 v11, 31, v10
	s_addc_u32 s39, s27, s39
	v_lshl_add_u64 v[12:13], v[10:11], 2, s[38:39]
	s_mov_b64 s[38:39], 0
.LBB4_54:                               ;   Parent Loop BB4_20 Depth=1
                                        ; =>  This Inner Loop Header: Depth=2
	global_load_dword v9, v[12:13], off
	ds_read_b32 v11, v4
	v_add_u32_e32 v10, 0x400, v10
	v_cmp_le_i32_e32 vcc, s28, v10
	s_or_b64 s[38:39], vcc, s[38:39]
	v_add_u32_e32 v4, 0x1000, v4
	s_waitcnt vmcnt(0) lgkmcnt(0)
	v_fmac_f32_e32 v9, v8, v11
	global_store_dword v[12:13], v9, off
	v_lshl_add_u64 v[12:13], v[12:13], 0, s[34:35]
	s_andn2_b64 exec, exec, s[38:39]
	s_cbranch_execnz .LBB4_54
	s_branch .LBB4_19
.LBB4_55:
	s_endpgm
	.section	.rodata,"a",@progbits
	.p2align	6, 0x0
	.amdhsa_kernel _ZN9rocsolver6v33100L22larf_left_kernel_smallILi1024EfiPfEEvT1_S3_T2_lS3_lPKT0_lS4_lS3_l
		.amdhsa_group_segment_fixed_size 12288
		.amdhsa_private_segment_fixed_size 0
		.amdhsa_kernarg_size 88
		.amdhsa_user_sgpr_count 2
		.amdhsa_user_sgpr_dispatch_ptr 0
		.amdhsa_user_sgpr_queue_ptr 0
		.amdhsa_user_sgpr_kernarg_segment_ptr 1
		.amdhsa_user_sgpr_dispatch_id 0
		.amdhsa_user_sgpr_kernarg_preload_length 0
		.amdhsa_user_sgpr_kernarg_preload_offset 0
		.amdhsa_user_sgpr_private_segment_size 0
		.amdhsa_uses_dynamic_stack 0
		.amdhsa_enable_private_segment 0
		.amdhsa_system_sgpr_workgroup_id_x 1
		.amdhsa_system_sgpr_workgroup_id_y 1
		.amdhsa_system_sgpr_workgroup_id_z 0
		.amdhsa_system_sgpr_workgroup_info 0
		.amdhsa_system_vgpr_workitem_id 0
		.amdhsa_next_free_vgpr 42
		.amdhsa_next_free_sgpr 57
		.amdhsa_accum_offset 44
		.amdhsa_reserve_vcc 1
		.amdhsa_float_round_mode_32 0
		.amdhsa_float_round_mode_16_64 0
		.amdhsa_float_denorm_mode_32 3
		.amdhsa_float_denorm_mode_16_64 3
		.amdhsa_dx10_clamp 1
		.amdhsa_ieee_mode 1
		.amdhsa_fp16_overflow 0
		.amdhsa_tg_split 0
		.amdhsa_exception_fp_ieee_invalid_op 0
		.amdhsa_exception_fp_denorm_src 0
		.amdhsa_exception_fp_ieee_div_zero 0
		.amdhsa_exception_fp_ieee_overflow 0
		.amdhsa_exception_fp_ieee_underflow 0
		.amdhsa_exception_fp_ieee_inexact 0
		.amdhsa_exception_int_div_zero 0
	.end_amdhsa_kernel
	.section	.text._ZN9rocsolver6v33100L22larf_left_kernel_smallILi1024EfiPfEEvT1_S3_T2_lS3_lPKT0_lS4_lS3_l,"axG",@progbits,_ZN9rocsolver6v33100L22larf_left_kernel_smallILi1024EfiPfEEvT1_S3_T2_lS3_lPKT0_lS4_lS3_l,comdat
.Lfunc_end4:
	.size	_ZN9rocsolver6v33100L22larf_left_kernel_smallILi1024EfiPfEEvT1_S3_T2_lS3_lPKT0_lS4_lS3_l, .Lfunc_end4-_ZN9rocsolver6v33100L22larf_left_kernel_smallILi1024EfiPfEEvT1_S3_T2_lS3_lPKT0_lS4_lS3_l
                                        ; -- End function
	.set _ZN9rocsolver6v33100L22larf_left_kernel_smallILi1024EfiPfEEvT1_S3_T2_lS3_lPKT0_lS4_lS3_l.num_vgpr, 42
	.set _ZN9rocsolver6v33100L22larf_left_kernel_smallILi1024EfiPfEEvT1_S3_T2_lS3_lPKT0_lS4_lS3_l.num_agpr, 0
	.set _ZN9rocsolver6v33100L22larf_left_kernel_smallILi1024EfiPfEEvT1_S3_T2_lS3_lPKT0_lS4_lS3_l.numbered_sgpr, 57
	.set _ZN9rocsolver6v33100L22larf_left_kernel_smallILi1024EfiPfEEvT1_S3_T2_lS3_lPKT0_lS4_lS3_l.num_named_barrier, 0
	.set _ZN9rocsolver6v33100L22larf_left_kernel_smallILi1024EfiPfEEvT1_S3_T2_lS3_lPKT0_lS4_lS3_l.private_seg_size, 0
	.set _ZN9rocsolver6v33100L22larf_left_kernel_smallILi1024EfiPfEEvT1_S3_T2_lS3_lPKT0_lS4_lS3_l.uses_vcc, 1
	.set _ZN9rocsolver6v33100L22larf_left_kernel_smallILi1024EfiPfEEvT1_S3_T2_lS3_lPKT0_lS4_lS3_l.uses_flat_scratch, 0
	.set _ZN9rocsolver6v33100L22larf_left_kernel_smallILi1024EfiPfEEvT1_S3_T2_lS3_lPKT0_lS4_lS3_l.has_dyn_sized_stack, 0
	.set _ZN9rocsolver6v33100L22larf_left_kernel_smallILi1024EfiPfEEvT1_S3_T2_lS3_lPKT0_lS4_lS3_l.has_recursion, 0
	.set _ZN9rocsolver6v33100L22larf_left_kernel_smallILi1024EfiPfEEvT1_S3_T2_lS3_lPKT0_lS4_lS3_l.has_indirect_call, 0
	.section	.AMDGPU.csdata,"",@progbits
; Kernel info:
; codeLenInByte = 3384
; TotalNumSgprs: 63
; NumVgprs: 42
; NumAgprs: 0
; TotalNumVgprs: 42
; ScratchSize: 0
; MemoryBound: 0
; FloatMode: 240
; IeeeMode: 1
; LDSByteSize: 12288 bytes/workgroup (compile time only)
; SGPRBlocks: 7
; VGPRBlocks: 5
; NumSGPRsForWavesPerEU: 63
; NumVGPRsForWavesPerEU: 42
; AccumOffset: 44
; Occupancy: 8
; WaveLimiterHint : 1
; COMPUTE_PGM_RSRC2:SCRATCH_EN: 0
; COMPUTE_PGM_RSRC2:USER_SGPR: 2
; COMPUTE_PGM_RSRC2:TRAP_HANDLER: 0
; COMPUTE_PGM_RSRC2:TGID_X_EN: 1
; COMPUTE_PGM_RSRC2:TGID_Y_EN: 1
; COMPUTE_PGM_RSRC2:TGID_Z_EN: 0
; COMPUTE_PGM_RSRC2:TIDIG_COMP_CNT: 0
; COMPUTE_PGM_RSRC3_GFX90A:ACCUM_OFFSET: 10
; COMPUTE_PGM_RSRC3_GFX90A:TG_SPLIT: 0
	.section	.text._ZN9rocsolver6v33100L23larf_right_kernel_smallILi64EfiPfEEvT1_S3_T2_lS3_lPKT0_lS4_lS3_l,"axG",@progbits,_ZN9rocsolver6v33100L23larf_right_kernel_smallILi64EfiPfEEvT1_S3_T2_lS3_lPKT0_lS4_lS3_l,comdat
	.globl	_ZN9rocsolver6v33100L23larf_right_kernel_smallILi64EfiPfEEvT1_S3_T2_lS3_lPKT0_lS4_lS3_l ; -- Begin function _ZN9rocsolver6v33100L23larf_right_kernel_smallILi64EfiPfEEvT1_S3_T2_lS3_lPKT0_lS4_lS3_l
	.p2align	8
	.type	_ZN9rocsolver6v33100L23larf_right_kernel_smallILi64EfiPfEEvT1_S3_T2_lS3_lPKT0_lS4_lS3_l,@function
_ZN9rocsolver6v33100L23larf_right_kernel_smallILi64EfiPfEEvT1_S3_T2_lS3_lPKT0_lS4_lS3_l: ; @_ZN9rocsolver6v33100L23larf_right_kernel_smallILi64EfiPfEEvT1_S3_T2_lS3_lPKT0_lS4_lS3_l
; %bb.0:
	s_load_dwordx2 s[18:19], s[0:1], 0x0
	s_load_dwordx8 s[8:15], s[0:1], 0x20
	s_load_dwordx2 s[20:21], s[0:1], 0x40
	s_mov_b32 s16, s3
	s_ashr_i32 s3, s2, 31
	s_waitcnt lgkmcnt(0)
	v_cmp_gt_i32_e64 s[4:5], s19, v0
	s_and_saveexec_b64 s[22:23], s[4:5]
	s_cbranch_execz .LBB5_17
; %bb.1:
	s_load_dwordx4 s[24:27], s[0:1], 0x8
	s_load_dword s17, s[0:1], 0x18
	s_mul_i32 s6, s8, s3
	s_mul_hi_u32 s7, s8, s2
	s_add_i32 s6, s7, s6
	s_mul_i32 s7, s9, s2
	s_add_i32 s7, s6, s7
	s_mul_i32 s6, s8, s2
	s_lshl_b64 s[6:7], s[6:7], 2
	s_waitcnt lgkmcnt(0)
	s_add_u32 s8, s24, s6
	s_addc_u32 s9, s25, s7
	s_lshl_b64 s[6:7], s[26:27], 2
	s_add_u32 s24, s8, s6
	s_addc_u32 s25, s9, s7
	s_sub_i32 s6, 1, s19
	s_mul_i32 s6, s17, s6
	s_cmp_lt_i32 s17, 1
	s_cselect_b32 s30, s6, 0
	v_xad_u32 v2, v0, -1, s19
	s_movk_i32 s6, 0x5bf
	v_cmp_lt_u32_e32 vcc, s6, v2
	s_mov_b64 s[6:7], 0
                                        ; implicit-def: $vgpr1
                                        ; implicit-def: $vgpr4
	s_and_saveexec_b64 s[8:9], vcc
	s_xor_b64 s[26:27], exec, s[8:9]
	s_cbranch_execnz .LBB5_4
; %bb.2:
	s_andn2_saveexec_b64 s[8:9], s[26:27]
	s_cbranch_execnz .LBB5_14
.LBB5_3:
	s_or_b64 exec, exec, s[8:9]
	s_and_b64 exec, exec, s[6:7]
	s_cbranch_execnz .LBB5_15
	s_branch .LBB5_17
.LBB5_4:
	s_lshl_b32 s31, s17, 6
	s_sub_i32 s8, 0, s31
	s_cmp_lt_i32 s31, 0
	s_cselect_b64 vcc, -1, 0
	s_and_b64 s[6:7], vcc, exec
	v_lshrrev_b32_e32 v4, 6, v2
	s_cselect_b32 s8, s8, s31
	v_mul_lo_u32 v1, v0, s17
	v_mul_hi_u32 v2, s8, v4
	v_add_u32_e32 v1, s30, v1
	v_cmp_eq_u32_e64 s[6:7], 0, v2
	v_mul_lo_u32 v2, s8, v4
	v_add_u32_e32 v3, v1, v2
	v_sub_u32_e32 v2, v1, v2
	v_cmp_gt_i32_e64 s[8:9], v2, v1
	s_nop 1
	v_cndmask_b32_e64 v2, 0, 1, s[8:9]
	v_cmp_lt_i32_e64 s[8:9], v3, v1
	s_nop 1
	v_cndmask_b32_e64 v1, 0, 1, s[8:9]
	v_cndmask_b32_e32 v1, v1, v2, vcc
	v_and_b32_e32 v1, 1, v1
	v_cmp_eq_u32_e32 vcc, 1, v1
	s_xor_b64 s[28:29], vcc, -1
	s_mov_b64 s[8:9], -1
	s_and_b64 s[28:29], s[28:29], s[6:7]
	v_mov_b32_e32 v1, v0
	s_and_saveexec_b64 s[6:7], s[28:29]
	s_cbranch_execz .LBB5_13
; %bb.5:
	v_add_u32_e32 v2, -1, v4
	v_or_b32_e32 v1, 64, v0
	v_lshrrev_b32_e32 v3, 1, v2
	s_mov_b32 s33, 0
	v_add_u32_e32 v5, 1, v3
	v_cmp_lt_u32_e32 vcc, 5, v2
	v_mov_b32_e32 v8, 0
	v_mov_b64_e32 v[2:3], v[0:1]
	s_and_saveexec_b64 s[8:9], vcc
	s_cbranch_execz .LBB5_9
; %bb.6:
	v_and_b32_e32 v6, -4, v5
	v_lshlrev_b32_e32 v7, 2, v0
	s_mov_b64 s[28:29], 0
	v_mov_b64_e32 v[2:3], v[0:1]
.LBB5_7:                                ; =>This Inner Loop Header: Depth=1
	v_mul_lo_u32 v1, v3, s17
	v_mul_lo_u32 v8, v2, s17
	v_add_u32_e32 v9, 0x80, v2
	v_add_u32_e32 v11, 0x80, v3
	;; [unrolled: 1-line block ×8, first 2 shown]
	v_mul_lo_u32 v1, v11, s17
	v_mul_lo_u32 v16, v9, s17
	;; [unrolled: 1-line block ×6, first 2 shown]
	v_ashrrev_i32_e32 v9, 31, v8
	v_add_u32_e32 v12, s30, v16
	v_add_u32_e32 v14, s30, v1
	;; [unrolled: 1-line block ×6, first 2 shown]
	v_ashrrev_i32_e32 v11, 31, v10
	v_lshl_add_u64 v[8:9], v[8:9], 2, s[24:25]
	v_ashrrev_i32_e32 v15, 31, v14
	v_ashrrev_i32_e32 v13, 31, v12
	;; [unrolled: 1-line block ×6, first 2 shown]
	v_lshl_add_u64 v[10:11], v[10:11], 2, s[24:25]
	v_lshl_add_u64 v[12:13], v[12:13], 2, s[24:25]
	;; [unrolled: 1-line block ×7, first 2 shown]
	global_load_dword v1, v[8:9], off
	global_load_dword v24, v[10:11], off
	;; [unrolled: 1-line block ×8, first 2 shown]
	v_add_u32_e32 v6, -4, v6
	s_add_i32 s33, s33, 8
	v_cmp_eq_u32_e32 vcc, 0, v6
	v_add_u32_e32 v3, 0x200, v3
	v_add_u32_e32 v2, 0x200, v2
	v_mov_b32_e32 v8, s33
	s_or_b64 s[28:29], vcc, s[28:29]
	s_waitcnt vmcnt(6)
	ds_write2st64_b32 v7, v1, v24 offset1:1
	s_waitcnt vmcnt(4)
	ds_write2st64_b32 v7, v25, v26 offset0:2 offset1:3
	s_waitcnt vmcnt(2)
	ds_write2st64_b32 v7, v27, v28 offset0:4 offset1:5
	;; [unrolled: 2-line block ×3, first 2 shown]
	v_add_u32_e32 v7, 0x800, v7
	s_andn2_b64 exec, exec, s[28:29]
	s_cbranch_execnz .LBB5_7
; %bb.8:
	s_or_b64 exec, exec, s[28:29]
.LBB5_9:
	s_or_b64 exec, exec, s[8:9]
	v_and_b32_e32 v1, 3, v5
	v_cmp_ne_u32_e32 vcc, 0, v1
	s_and_saveexec_b64 s[8:9], vcc
	s_cbranch_execz .LBB5_12
; %bb.10:
	v_lshlrev_b32_e32 v5, 2, v0
	v_lshl_or_b32 v5, v8, 8, v5
	s_mov_b64 s[28:29], 0
.LBB5_11:                               ; =>This Inner Loop Header: Depth=1
	v_mul_lo_u32 v6, v2, s17
	v_mul_lo_u32 v7, v3, s17
	v_add_u32_e32 v6, s30, v6
	v_add_u32_e32 v8, s30, v7
	v_ashrrev_i32_e32 v7, 31, v6
	v_ashrrev_i32_e32 v9, 31, v8
	v_lshl_add_u64 v[6:7], v[6:7], 2, s[24:25]
	v_lshl_add_u64 v[8:9], v[8:9], 2, s[24:25]
	global_load_dword v10, v[6:7], off
	global_load_dword v11, v[8:9], off
	v_add_u32_e32 v1, -1, v1
	v_cmp_eq_u32_e32 vcc, 0, v1
	v_add_u32_e32 v3, 0x80, v3
	v_add_u32_e32 v2, 0x80, v2
	s_or_b64 s[28:29], vcc, s[28:29]
	s_waitcnt vmcnt(0)
	ds_write2st64_b32 v5, v10, v11 offset1:1
	v_add_u32_e32 v5, 0x200, v5
	s_andn2_b64 exec, exec, s[28:29]
	s_cbranch_execnz .LBB5_11
.LBB5_12:
	s_or_b64 exec, exec, s[8:9]
	v_add_u32_e32 v2, 1, v4
	v_and_b32_e32 v3, 0x7fffffe, v2
	v_cmp_ne_u32_e32 vcc, v2, v3
	v_lshl_or_b32 v1, v3, 6, v0
	s_orn2_b64 s[8:9], vcc, exec
.LBB5_13:
	s_or_b64 exec, exec, s[6:7]
	v_mov_b32_e32 v4, s31
	s_and_b64 s[6:7], s[8:9], exec
	s_andn2_saveexec_b64 s[8:9], s[26:27]
	s_cbranch_execz .LBB5_3
.LBB5_14:
	s_lshl_b32 s26, s17, 6
	v_mov_b32_e32 v4, s26
	s_or_b64 s[6:7], s[6:7], exec
	v_mov_b32_e32 v1, v0
	s_or_b64 exec, exec, s[8:9]
	s_and_b64 exec, exec, s[6:7]
	s_cbranch_execz .LBB5_17
.LBB5_15:
	v_mul_lo_u32 v2, v1, s17
	v_add_u32_e32 v2, s30, v2
	v_lshlrev_b32_e32 v5, 2, v1
	s_mov_b64 s[6:7], 0
.LBB5_16:                               ; =>This Inner Loop Header: Depth=1
	v_ashrrev_i32_e32 v3, 31, v2
	v_lshl_add_u64 v[6:7], v[2:3], 2, s[24:25]
	global_load_dword v3, v[6:7], off
	v_add_u32_e32 v1, 64, v1
	v_cmp_le_i32_e32 vcc, s19, v1
	v_add_u32_e32 v2, v2, v4
	s_or_b64 s[6:7], vcc, s[6:7]
	s_waitcnt vmcnt(0)
	ds_write_b32 v5, v3
	v_add_u32_e32 v5, 0x100, v5
	s_andn2_b64 exec, exec, s[6:7]
	s_cbranch_execnz .LBB5_16
.LBB5_17:
	s_or_b64 exec, exec, s[22:23]
	s_cmp_ge_i32 s16, s18
	s_waitcnt lgkmcnt(0)
	; wave barrier
	s_cbranch_scc1 .LBB5_35
; %bb.18:
	s_load_dwordx2 s[6:7], s[0:1], 0x50
	s_load_dword s8, s[0:1], 0x48
	v_mbcnt_lo_u32_b32 v2, -1, 0
	v_mbcnt_hi_u32_b32 v7, -1, v2
	v_mov_b32_e32 v2, 0x80
	s_waitcnt lgkmcnt(0)
	s_mul_i32 s1, s6, s3
	s_mul_hi_u32 s9, s6, s2
	s_mul_i32 s7, s7, s2
	s_add_i32 s1, s9, s1
	s_mul_i32 s0, s6, s2
	s_add_i32 s1, s1, s7
	s_lshl_b64 s[0:1], s[0:1], 2
	s_add_u32 s6, s14, s0
	s_addc_u32 s7, s15, s1
	s_lshl_b64 s[0:1], s[20:21], 2
	s_add_u32 s14, s6, s0
	s_addc_u32 s15, s7, s1
	s_mul_i32 s0, s12, s3
	s_mul_hi_u32 s1, s12, s2
	s_add_i32 s0, s1, s0
	s_mul_i32 s1, s13, s2
	s_add_i32 s1, s0, s1
	s_mul_i32 s0, s12, s2
	s_lshl_b64 s[0:1], s[0:1], 2
	s_add_u32 s0, s10, s0
	s_addc_u32 s1, s11, s1
	s_cmp_gt_i32 s19, 1
	s_cselect_b64 s[2:3], -1, 0
	v_cmp_eq_u32_e64 s[6:7], 0, v0
	v_lshrrev_b32_e32 v1, 4, v0
	v_lshlrev_b32_e32 v4, 2, v0
	v_mul_lo_u32 v5, v0, s8
	s_lshl_b32 s20, s8, 6
	v_mov_b32_e32 v6, 0
	v_and_b32_e32 v8, 63, v7
	v_lshl_or_b32 v9, v7, 2, v2
	s_branch .LBB5_20
.LBB5_19:                               ;   in Loop: Header=BB5_20 Depth=1
	s_or_b64 exec, exec, s[10:11]
	s_add_i32 s16, s16, 64
	s_cmp_ge_i32 s16, s18
	s_cbranch_scc1 .LBB5_35
.LBB5_20:                               ; =>This Loop Header: Depth=1
                                        ;     Child Loop BB5_22 Depth 2
                                        ;     Child Loop BB5_34 Depth 2
	s_ashr_i32 s17, s16, 31
	s_lshl_b64 s[8:9], s[16:17], 2
	s_add_u32 s8, s14, s8
	s_addc_u32 s9, s15, s9
	v_mov_b32_e32 v10, 0
	s_and_saveexec_b64 s[10:11], s[4:5]
	s_cbranch_execz .LBB5_24
; %bb.21:                               ;   in Loop: Header=BB5_20 Depth=1
	v_mov_b32_e32 v10, 0
	s_mov_b64 s[12:13], 0
	v_mov_b32_e32 v2, v5
	v_mov_b32_e32 v11, v4
	;; [unrolled: 1-line block ×3, first 2 shown]
.LBB5_22:                               ;   Parent Loop BB5_20 Depth=1
                                        ; =>  This Inner Loop Header: Depth=2
	v_ashrrev_i32_e32 v3, 31, v2
	v_lshl_add_u64 v[14:15], v[2:3], 2, s[8:9]
	global_load_dword v3, v[14:15], off
	ds_read_b32 v13, v11
	v_add_u32_e32 v12, 64, v12
	v_cmp_le_i32_e32 vcc, s19, v12
	v_add_u32_e32 v11, 0x100, v11
	v_add_u32_e32 v2, s20, v2
	s_or_b64 s[12:13], vcc, s[12:13]
	s_waitcnt vmcnt(0) lgkmcnt(0)
	v_fmac_f32_e32 v10, v13, v3
	s_andn2_b64 exec, exec, s[12:13]
	s_cbranch_execnz .LBB5_22
; %bb.23:                               ;   in Loop: Header=BB5_20 Depth=1
	s_or_b64 exec, exec, s[12:13]
.LBB5_24:                               ;   in Loop: Header=BB5_20 Depth=1
	s_or_b64 exec, exec, s[10:11]
	s_and_b64 vcc, exec, s[2:3]
	s_cbranch_vccz .LBB5_29
; %bb.25:                               ;   in Loop: Header=BB5_20 Depth=1
	v_cmp_ne_u32_e32 vcc, 63, v8
	s_nop 1
	v_addc_co_u32_e32 v2, vcc, 0, v7, vcc
	v_lshlrev_b32_e32 v2, 2, v2
	ds_bpermute_b32 v2, v2, v10
	v_cmp_gt_u32_e32 vcc, 62, v8
	s_waitcnt lgkmcnt(0)
	v_add_f32_e32 v2, v10, v2
	v_cndmask_b32_e64 v3, 0, 2, vcc
	v_add_lshl_u32 v3, v3, v7, 2
	ds_bpermute_b32 v3, v3, v2
	v_cmp_gt_u32_e32 vcc, 60, v8
	s_waitcnt lgkmcnt(0)
	v_add_f32_e32 v2, v2, v3
	v_cndmask_b32_e64 v11, 0, 4, vcc
	v_add_lshl_u32 v11, v11, v7, 2
	;; [unrolled: 6-line block ×4, first 2 shown]
	ds_bpermute_b32 v3, v3, v2
	s_waitcnt lgkmcnt(0)
	v_add_f32_e32 v2, v2, v3
	ds_bpermute_b32 v3, v9, v2
	s_waitcnt lgkmcnt(0)
	v_add_f32_e32 v2, v2, v3
	s_and_saveexec_b64 s[10:11], s[6:7]
; %bb.26:                               ;   in Loop: Header=BB5_20 Depth=1
	ds_write_b32 v1, v2 offset:8192
; %bb.27:                               ;   in Loop: Header=BB5_20 Depth=1
	s_or_b64 exec, exec, s[10:11]
	s_waitcnt lgkmcnt(0)
	; wave barrier
	s_mov_b64 s[10:11], s[6:7]
.LBB5_28:                               ;   in Loop: Header=BB5_20 Depth=1
	v_mov_b32_e32 v10, v2
	s_and_saveexec_b64 s[12:13], s[10:11]
	s_cbranch_execnz .LBB5_31
	s_branch .LBB5_32
.LBB5_29:                               ;   in Loop: Header=BB5_20 Depth=1
	s_mov_b64 s[10:11], 0
                                        ; implicit-def: $vgpr2
	s_cbranch_execz .LBB5_28
; %bb.30:                               ;   in Loop: Header=BB5_20 Depth=1
	s_andn2_b64 s[10:11], s[10:11], exec
	s_and_b64 s[12:13], s[6:7], exec
	s_or_b64 s[10:11], s[10:11], s[12:13]
	s_and_saveexec_b64 s[12:13], s[10:11]
.LBB5_31:                               ;   in Loop: Header=BB5_20 Depth=1
	ds_write_b32 v6, v10 offset:8192
.LBB5_32:                               ;   in Loop: Header=BB5_20 Depth=1
	s_or_b64 exec, exec, s[12:13]
	s_waitcnt lgkmcnt(0)
	; wave barrier
	s_and_saveexec_b64 s[10:11], s[4:5]
	s_cbranch_execz .LBB5_19
; %bb.33:                               ;   in Loop: Header=BB5_20 Depth=1
	global_load_dword v3, v6, s[0:1]
	ds_read_b32 v11, v6 offset:8192
	s_mov_b64 s[12:13], 0
	v_mov_b32_e32 v10, v4
	v_mov_b32_e32 v2, v5
	;; [unrolled: 1-line block ×3, first 2 shown]
	s_waitcnt vmcnt(0) lgkmcnt(0)
	v_mul_f32_e64 v11, v11, -v3
.LBB5_34:                               ;   Parent Loop BB5_20 Depth=1
                                        ; =>  This Inner Loop Header: Depth=2
	v_ashrrev_i32_e32 v3, 31, v2
	v_lshl_add_u64 v[14:15], v[2:3], 2, s[8:9]
	global_load_dword v3, v[14:15], off
	ds_read_b32 v13, v10
	v_add_u32_e32 v12, 64, v12
	v_cmp_le_i32_e32 vcc, s19, v12
	v_add_u32_e32 v10, 0x100, v10
	v_add_u32_e32 v2, s20, v2
	s_or_b64 s[12:13], vcc, s[12:13]
	s_waitcnt vmcnt(0) lgkmcnt(0)
	v_fmac_f32_e32 v3, v11, v13
	global_store_dword v[14:15], v3, off
	s_andn2_b64 exec, exec, s[12:13]
	s_cbranch_execnz .LBB5_34
	s_branch .LBB5_19
.LBB5_35:
	s_endpgm
	.section	.rodata,"a",@progbits
	.p2align	6, 0x0
	.amdhsa_kernel _ZN9rocsolver6v33100L23larf_right_kernel_smallILi64EfiPfEEvT1_S3_T2_lS3_lPKT0_lS4_lS3_l
		.amdhsa_group_segment_fixed_size 8196
		.amdhsa_private_segment_fixed_size 0
		.amdhsa_kernarg_size 88
		.amdhsa_user_sgpr_count 2
		.amdhsa_user_sgpr_dispatch_ptr 0
		.amdhsa_user_sgpr_queue_ptr 0
		.amdhsa_user_sgpr_kernarg_segment_ptr 1
		.amdhsa_user_sgpr_dispatch_id 0
		.amdhsa_user_sgpr_kernarg_preload_length 0
		.amdhsa_user_sgpr_kernarg_preload_offset 0
		.amdhsa_user_sgpr_private_segment_size 0
		.amdhsa_uses_dynamic_stack 0
		.amdhsa_enable_private_segment 0
		.amdhsa_system_sgpr_workgroup_id_x 1
		.amdhsa_system_sgpr_workgroup_id_y 1
		.amdhsa_system_sgpr_workgroup_id_z 0
		.amdhsa_system_sgpr_workgroup_info 0
		.amdhsa_system_vgpr_workitem_id 0
		.amdhsa_next_free_vgpr 81
		.amdhsa_next_free_sgpr 96
		.amdhsa_accum_offset 32
		.amdhsa_reserve_vcc 1
		.amdhsa_float_round_mode_32 0
		.amdhsa_float_round_mode_16_64 0
		.amdhsa_float_denorm_mode_32 3
		.amdhsa_float_denorm_mode_16_64 3
		.amdhsa_dx10_clamp 1
		.amdhsa_ieee_mode 1
		.amdhsa_fp16_overflow 0
		.amdhsa_tg_split 0
		.amdhsa_exception_fp_ieee_invalid_op 0
		.amdhsa_exception_fp_denorm_src 0
		.amdhsa_exception_fp_ieee_div_zero 0
		.amdhsa_exception_fp_ieee_overflow 0
		.amdhsa_exception_fp_ieee_underflow 0
		.amdhsa_exception_fp_ieee_inexact 0
		.amdhsa_exception_int_div_zero 0
	.end_amdhsa_kernel
	.section	.text._ZN9rocsolver6v33100L23larf_right_kernel_smallILi64EfiPfEEvT1_S3_T2_lS3_lPKT0_lS4_lS3_l,"axG",@progbits,_ZN9rocsolver6v33100L23larf_right_kernel_smallILi64EfiPfEEvT1_S3_T2_lS3_lPKT0_lS4_lS3_l,comdat
.Lfunc_end5:
	.size	_ZN9rocsolver6v33100L23larf_right_kernel_smallILi64EfiPfEEvT1_S3_T2_lS3_lPKT0_lS4_lS3_l, .Lfunc_end5-_ZN9rocsolver6v33100L23larf_right_kernel_smallILi64EfiPfEEvT1_S3_T2_lS3_lPKT0_lS4_lS3_l
                                        ; -- End function
	.set _ZN9rocsolver6v33100L23larf_right_kernel_smallILi64EfiPfEEvT1_S3_T2_lS3_lPKT0_lS4_lS3_l.num_vgpr, 31
	.set _ZN9rocsolver6v33100L23larf_right_kernel_smallILi64EfiPfEEvT1_S3_T2_lS3_lPKT0_lS4_lS3_l.num_agpr, 0
	.set _ZN9rocsolver6v33100L23larf_right_kernel_smallILi64EfiPfEEvT1_S3_T2_lS3_lPKT0_lS4_lS3_l.numbered_sgpr, 34
	.set _ZN9rocsolver6v33100L23larf_right_kernel_smallILi64EfiPfEEvT1_S3_T2_lS3_lPKT0_lS4_lS3_l.num_named_barrier, 0
	.set _ZN9rocsolver6v33100L23larf_right_kernel_smallILi64EfiPfEEvT1_S3_T2_lS3_lPKT0_lS4_lS3_l.private_seg_size, 0
	.set _ZN9rocsolver6v33100L23larf_right_kernel_smallILi64EfiPfEEvT1_S3_T2_lS3_lPKT0_lS4_lS3_l.uses_vcc, 1
	.set _ZN9rocsolver6v33100L23larf_right_kernel_smallILi64EfiPfEEvT1_S3_T2_lS3_lPKT0_lS4_lS3_l.uses_flat_scratch, 0
	.set _ZN9rocsolver6v33100L23larf_right_kernel_smallILi64EfiPfEEvT1_S3_T2_lS3_lPKT0_lS4_lS3_l.has_dyn_sized_stack, 0
	.set _ZN9rocsolver6v33100L23larf_right_kernel_smallILi64EfiPfEEvT1_S3_T2_lS3_lPKT0_lS4_lS3_l.has_recursion, 0
	.set _ZN9rocsolver6v33100L23larf_right_kernel_smallILi64EfiPfEEvT1_S3_T2_lS3_lPKT0_lS4_lS3_l.has_indirect_call, 0
	.section	.AMDGPU.csdata,"",@progbits
; Kernel info:
; codeLenInByte = 1880
; TotalNumSgprs: 40
; NumVgprs: 31
; NumAgprs: 0
; TotalNumVgprs: 31
; ScratchSize: 0
; MemoryBound: 0
; FloatMode: 240
; IeeeMode: 1
; LDSByteSize: 8196 bytes/workgroup (compile time only)
; SGPRBlocks: 12
; VGPRBlocks: 10
; NumSGPRsForWavesPerEU: 102
; NumVGPRsForWavesPerEU: 81
; AccumOffset: 32
; Occupancy: 5
; WaveLimiterHint : 0
; COMPUTE_PGM_RSRC2:SCRATCH_EN: 0
; COMPUTE_PGM_RSRC2:USER_SGPR: 2
; COMPUTE_PGM_RSRC2:TRAP_HANDLER: 0
; COMPUTE_PGM_RSRC2:TGID_X_EN: 1
; COMPUTE_PGM_RSRC2:TGID_Y_EN: 1
; COMPUTE_PGM_RSRC2:TGID_Z_EN: 0
; COMPUTE_PGM_RSRC2:TIDIG_COMP_CNT: 0
; COMPUTE_PGM_RSRC3_GFX90A:ACCUM_OFFSET: 7
; COMPUTE_PGM_RSRC3_GFX90A:TG_SPLIT: 0
	.section	.text._ZN9rocsolver6v33100L23larf_right_kernel_smallILi128EfiPfEEvT1_S3_T2_lS3_lPKT0_lS4_lS3_l,"axG",@progbits,_ZN9rocsolver6v33100L23larf_right_kernel_smallILi128EfiPfEEvT1_S3_T2_lS3_lPKT0_lS4_lS3_l,comdat
	.globl	_ZN9rocsolver6v33100L23larf_right_kernel_smallILi128EfiPfEEvT1_S3_T2_lS3_lPKT0_lS4_lS3_l ; -- Begin function _ZN9rocsolver6v33100L23larf_right_kernel_smallILi128EfiPfEEvT1_S3_T2_lS3_lPKT0_lS4_lS3_l
	.p2align	8
	.type	_ZN9rocsolver6v33100L23larf_right_kernel_smallILi128EfiPfEEvT1_S3_T2_lS3_lPKT0_lS4_lS3_l,@function
_ZN9rocsolver6v33100L23larf_right_kernel_smallILi128EfiPfEEvT1_S3_T2_lS3_lPKT0_lS4_lS3_l: ; @_ZN9rocsolver6v33100L23larf_right_kernel_smallILi128EfiPfEEvT1_S3_T2_lS3_lPKT0_lS4_lS3_l
; %bb.0:
	s_load_dwordx2 s[18:19], s[0:1], 0x0
	s_load_dwordx8 s[8:15], s[0:1], 0x20
	s_load_dwordx2 s[20:21], s[0:1], 0x40
	s_mov_b32 s16, s3
	s_ashr_i32 s3, s2, 31
	s_waitcnt lgkmcnt(0)
	v_cmp_gt_i32_e64 s[6:7], s19, v0
	s_and_saveexec_b64 s[22:23], s[6:7]
	s_cbranch_execz .LBB6_17
; %bb.1:
	s_load_dwordx4 s[24:27], s[0:1], 0x8
	s_load_dword s17, s[0:1], 0x18
	s_mul_i32 s4, s8, s3
	s_mul_hi_u32 s5, s8, s2
	s_add_i32 s4, s5, s4
	s_mul_i32 s5, s9, s2
	s_add_i32 s5, s4, s5
	s_mul_i32 s4, s8, s2
	s_lshl_b64 s[4:5], s[4:5], 2
	s_waitcnt lgkmcnt(0)
	s_add_u32 s8, s24, s4
	s_addc_u32 s9, s25, s5
	s_lshl_b64 s[4:5], s[26:27], 2
	s_add_u32 s24, s8, s4
	s_addc_u32 s25, s9, s5
	s_sub_i32 s4, 1, s19
	s_mul_i32 s4, s17, s4
	s_cmp_lt_i32 s17, 1
	s_cselect_b32 s30, s4, 0
	v_xad_u32 v2, v0, -1, s19
	s_movk_i32 s4, 0xb7f
	v_cmp_lt_u32_e32 vcc, s4, v2
	s_mov_b64 s[4:5], 0
                                        ; implicit-def: $vgpr1
                                        ; implicit-def: $vgpr4
	s_and_saveexec_b64 s[8:9], vcc
	s_xor_b64 s[26:27], exec, s[8:9]
	s_cbranch_execnz .LBB6_4
; %bb.2:
	s_andn2_saveexec_b64 s[8:9], s[26:27]
	s_cbranch_execnz .LBB6_14
.LBB6_3:
	s_or_b64 exec, exec, s[8:9]
	s_and_b64 exec, exec, s[4:5]
	s_cbranch_execnz .LBB6_15
	s_branch .LBB6_17
.LBB6_4:
	s_lshl_b32 s31, s17, 7
	s_sub_i32 s8, 0, s31
	s_cmp_lt_i32 s31, 0
	s_cselect_b64 vcc, -1, 0
	s_and_b64 s[4:5], vcc, exec
	v_lshrrev_b32_e32 v4, 7, v2
	s_cselect_b32 s8, s8, s31
	v_mul_lo_u32 v1, v0, s17
	v_mul_hi_u32 v2, s8, v4
	v_add_u32_e32 v1, s30, v1
	v_cmp_eq_u32_e64 s[4:5], 0, v2
	v_mul_lo_u32 v2, s8, v4
	v_add_u32_e32 v3, v1, v2
	v_sub_u32_e32 v2, v1, v2
	v_cmp_gt_i32_e64 s[8:9], v2, v1
	s_nop 1
	v_cndmask_b32_e64 v2, 0, 1, s[8:9]
	v_cmp_lt_i32_e64 s[8:9], v3, v1
	s_nop 1
	v_cndmask_b32_e64 v1, 0, 1, s[8:9]
	v_cndmask_b32_e32 v1, v1, v2, vcc
	v_and_b32_e32 v1, 1, v1
	v_cmp_eq_u32_e32 vcc, 1, v1
	s_xor_b64 s[28:29], vcc, -1
	s_mov_b64 s[8:9], -1
	s_and_b64 s[28:29], s[28:29], s[4:5]
	v_mov_b32_e32 v1, v0
	s_and_saveexec_b64 s[4:5], s[28:29]
	s_cbranch_execz .LBB6_13
; %bb.5:
	v_add_u32_e32 v2, -1, v4
	v_or_b32_e32 v1, 0x80, v0
	v_lshrrev_b32_e32 v3, 1, v2
	s_mov_b32 s33, 0
	v_add_u32_e32 v5, 1, v3
	v_cmp_lt_u32_e32 vcc, 5, v2
	v_mov_b32_e32 v8, 0
	v_mov_b64_e32 v[2:3], v[0:1]
	s_and_saveexec_b64 s[8:9], vcc
	s_cbranch_execz .LBB6_9
; %bb.6:
	v_and_b32_e32 v6, -4, v5
	v_lshlrev_b32_e32 v7, 2, v0
	s_mov_b64 s[28:29], 0
	v_mov_b64_e32 v[2:3], v[0:1]
.LBB6_7:                                ; =>This Inner Loop Header: Depth=1
	v_mul_lo_u32 v1, v3, s17
	v_mul_lo_u32 v8, v2, s17
	v_add_u32_e32 v9, 0x100, v2
	v_add_u32_e32 v11, 0x100, v3
	;; [unrolled: 1-line block ×8, first 2 shown]
	v_mul_lo_u32 v1, v11, s17
	v_mul_lo_u32 v16, v9, s17
	;; [unrolled: 1-line block ×6, first 2 shown]
	v_ashrrev_i32_e32 v9, 31, v8
	v_add_u32_e32 v12, s30, v16
	v_add_u32_e32 v14, s30, v1
	;; [unrolled: 1-line block ×6, first 2 shown]
	v_ashrrev_i32_e32 v11, 31, v10
	v_lshl_add_u64 v[8:9], v[8:9], 2, s[24:25]
	v_ashrrev_i32_e32 v15, 31, v14
	v_ashrrev_i32_e32 v13, 31, v12
	;; [unrolled: 1-line block ×6, first 2 shown]
	v_lshl_add_u64 v[10:11], v[10:11], 2, s[24:25]
	v_lshl_add_u64 v[12:13], v[12:13], 2, s[24:25]
	;; [unrolled: 1-line block ×7, first 2 shown]
	global_load_dword v1, v[8:9], off
	global_load_dword v24, v[10:11], off
	;; [unrolled: 1-line block ×8, first 2 shown]
	v_add_u32_e32 v6, -4, v6
	s_add_i32 s33, s33, 8
	v_cmp_eq_u32_e32 vcc, 0, v6
	v_add_u32_e32 v3, 0x400, v3
	v_add_u32_e32 v2, 0x400, v2
	v_mov_b32_e32 v8, s33
	s_or_b64 s[28:29], vcc, s[28:29]
	s_waitcnt vmcnt(6)
	ds_write2st64_b32 v7, v1, v24 offset1:2
	s_waitcnt vmcnt(4)
	ds_write2st64_b32 v7, v25, v26 offset0:4 offset1:6
	s_waitcnt vmcnt(2)
	ds_write2st64_b32 v7, v27, v28 offset0:8 offset1:10
	;; [unrolled: 2-line block ×3, first 2 shown]
	v_add_u32_e32 v7, 0x1000, v7
	s_andn2_b64 exec, exec, s[28:29]
	s_cbranch_execnz .LBB6_7
; %bb.8:
	s_or_b64 exec, exec, s[28:29]
.LBB6_9:
	s_or_b64 exec, exec, s[8:9]
	v_and_b32_e32 v1, 3, v5
	v_cmp_ne_u32_e32 vcc, 0, v1
	s_and_saveexec_b64 s[8:9], vcc
	s_cbranch_execz .LBB6_12
; %bb.10:
	v_lshlrev_b32_e32 v5, 2, v0
	v_lshl_or_b32 v5, v8, 9, v5
	s_mov_b64 s[28:29], 0
.LBB6_11:                               ; =>This Inner Loop Header: Depth=1
	v_mul_lo_u32 v6, v2, s17
	v_mul_lo_u32 v7, v3, s17
	v_add_u32_e32 v6, s30, v6
	v_add_u32_e32 v8, s30, v7
	v_ashrrev_i32_e32 v7, 31, v6
	v_ashrrev_i32_e32 v9, 31, v8
	v_lshl_add_u64 v[6:7], v[6:7], 2, s[24:25]
	v_lshl_add_u64 v[8:9], v[8:9], 2, s[24:25]
	global_load_dword v10, v[6:7], off
	global_load_dword v11, v[8:9], off
	v_add_u32_e32 v1, -1, v1
	v_cmp_eq_u32_e32 vcc, 0, v1
	v_add_u32_e32 v3, 0x100, v3
	v_add_u32_e32 v2, 0x100, v2
	s_or_b64 s[28:29], vcc, s[28:29]
	s_waitcnt vmcnt(0)
	ds_write2st64_b32 v5, v10, v11 offset1:2
	v_add_u32_e32 v5, 0x400, v5
	s_andn2_b64 exec, exec, s[28:29]
	s_cbranch_execnz .LBB6_11
.LBB6_12:
	s_or_b64 exec, exec, s[8:9]
	v_add_u32_e32 v2, 1, v4
	v_and_b32_e32 v3, 0x3fffffe, v2
	v_cmp_ne_u32_e32 vcc, v2, v3
	v_lshl_or_b32 v1, v3, 7, v0
	s_orn2_b64 s[8:9], vcc, exec
.LBB6_13:
	s_or_b64 exec, exec, s[4:5]
	v_mov_b32_e32 v4, s31
	s_and_b64 s[4:5], s[8:9], exec
	s_andn2_saveexec_b64 s[8:9], s[26:27]
	s_cbranch_execz .LBB6_3
.LBB6_14:
	s_lshl_b32 s26, s17, 7
	v_mov_b32_e32 v4, s26
	s_or_b64 s[4:5], s[4:5], exec
	v_mov_b32_e32 v1, v0
	s_or_b64 exec, exec, s[8:9]
	s_and_b64 exec, exec, s[4:5]
	s_cbranch_execz .LBB6_17
.LBB6_15:
	v_mul_lo_u32 v2, v1, s17
	v_add_u32_e32 v2, s30, v2
	v_lshlrev_b32_e32 v5, 2, v1
	s_mov_b64 s[4:5], 0
.LBB6_16:                               ; =>This Inner Loop Header: Depth=1
	v_ashrrev_i32_e32 v3, 31, v2
	v_lshl_add_u64 v[6:7], v[2:3], 2, s[24:25]
	global_load_dword v3, v[6:7], off
	v_add_u32_e32 v1, 0x80, v1
	v_cmp_le_i32_e32 vcc, s19, v1
	v_add_u32_e32 v2, v2, v4
	s_or_b64 s[4:5], vcc, s[4:5]
	s_waitcnt vmcnt(0)
	ds_write_b32 v5, v3
	v_add_u32_e32 v5, 0x200, v5
	s_andn2_b64 exec, exec, s[4:5]
	s_cbranch_execnz .LBB6_16
.LBB6_17:
	s_or_b64 exec, exec, s[22:23]
	s_cmp_ge_i32 s16, s18
	s_waitcnt lgkmcnt(0)
	s_barrier
	s_cbranch_scc1 .LBB6_37
; %bb.18:
	s_load_dwordx2 s[4:5], s[0:1], 0x50
	s_load_dword s17, s[0:1], 0x48
	v_mbcnt_lo_u32_b32 v2, -1, 0
	v_and_b32_e32 v1, 63, v0
	v_mbcnt_hi_u32_b32 v7, -1, v2
	s_waitcnt lgkmcnt(0)
	s_mul_i32 s1, s4, s3
	s_mul_hi_u32 s8, s4, s2
	s_mul_i32 s5, s5, s2
	s_add_i32 s1, s8, s1
	s_mul_i32 s0, s4, s2
	s_add_i32 s1, s1, s5
	s_lshl_b64 s[0:1], s[0:1], 2
	s_add_u32 s4, s14, s0
	s_addc_u32 s5, s15, s1
	s_lshl_b64 s[0:1], s[20:21], 2
	s_add_u32 s22, s4, s0
	s_addc_u32 s23, s5, s1
	s_mul_i32 s0, s12, s3
	s_mul_hi_u32 s1, s12, s2
	s_add_i32 s0, s1, s0
	s_mul_i32 s1, s13, s2
	s_add_i32 s1, s0, s1
	s_mul_i32 s0, s12, s2
	s_lshl_b64 s[0:1], s[0:1], 2
	s_add_u32 s2, s10, s0
	s_addc_u32 s3, s11, s1
	s_cmp_gt_i32 s19, 1
	v_mov_b32_e32 v2, 0x80
	s_cselect_b64 s[8:9], -1, 0
	v_cmp_eq_u32_e64 s[0:1], 0, v1
	v_lshrrev_b32_e32 v1, 4, v0
	v_cmp_eq_u32_e64 s[4:5], 0, v0
	v_lshlrev_b32_e32 v4, 2, v0
	v_mul_lo_u32 v5, v0, s17
	s_lshl_b32 s24, s17, 7
	v_mov_b32_e32 v6, 0
	v_and_b32_e32 v8, 63, v7
	v_lshl_or_b32 v9, v7, 2, v2
	s_branch .LBB6_20
.LBB6_19:                               ;   in Loop: Header=BB6_20 Depth=1
	s_or_b64 exec, exec, s[12:13]
	s_add_i32 s16, s16, 64
	s_cmp_ge_i32 s16, s18
	s_cbranch_scc1 .LBB6_37
.LBB6_20:                               ; =>This Loop Header: Depth=1
                                        ;     Child Loop BB6_22 Depth 2
                                        ;     Child Loop BB6_36 Depth 2
	s_ashr_i32 s17, s16, 31
	s_lshl_b64 s[10:11], s[16:17], 2
	s_add_u32 s10, s22, s10
	s_addc_u32 s11, s23, s11
	v_mov_b32_e32 v10, 0
	s_and_saveexec_b64 s[12:13], s[6:7]
	s_cbranch_execz .LBB6_24
; %bb.21:                               ;   in Loop: Header=BB6_20 Depth=1
	v_mov_b32_e32 v10, 0
	s_mov_b64 s[14:15], 0
	v_mov_b32_e32 v2, v5
	v_mov_b32_e32 v11, v4
	;; [unrolled: 1-line block ×3, first 2 shown]
.LBB6_22:                               ;   Parent Loop BB6_20 Depth=1
                                        ; =>  This Inner Loop Header: Depth=2
	v_ashrrev_i32_e32 v3, 31, v2
	v_lshl_add_u64 v[14:15], v[2:3], 2, s[10:11]
	global_load_dword v3, v[14:15], off
	ds_read_b32 v13, v11
	v_add_u32_e32 v12, 0x80, v12
	v_cmp_le_i32_e32 vcc, s19, v12
	v_add_u32_e32 v11, 0x200, v11
	v_add_u32_e32 v2, s24, v2
	s_or_b64 s[14:15], vcc, s[14:15]
	s_waitcnt vmcnt(0) lgkmcnt(0)
	v_fmac_f32_e32 v10, v13, v3
	s_andn2_b64 exec, exec, s[14:15]
	s_cbranch_execnz .LBB6_22
; %bb.23:                               ;   in Loop: Header=BB6_20 Depth=1
	s_or_b64 exec, exec, s[14:15]
.LBB6_24:                               ;   in Loop: Header=BB6_20 Depth=1
	s_or_b64 exec, exec, s[12:13]
	s_and_b64 vcc, exec, s[8:9]
	s_cbranch_vccz .LBB6_31
; %bb.25:                               ;   in Loop: Header=BB6_20 Depth=1
	v_cmp_ne_u32_e32 vcc, 63, v8
	s_nop 1
	v_addc_co_u32_e32 v2, vcc, 0, v7, vcc
	v_lshlrev_b32_e32 v2, 2, v2
	ds_bpermute_b32 v2, v2, v10
	v_cmp_gt_u32_e32 vcc, 62, v8
	s_waitcnt lgkmcnt(0)
	v_add_f32_e32 v2, v10, v2
	v_cndmask_b32_e64 v3, 0, 2, vcc
	v_add_lshl_u32 v3, v3, v7, 2
	ds_bpermute_b32 v3, v3, v2
	v_cmp_gt_u32_e32 vcc, 60, v8
	s_waitcnt lgkmcnt(0)
	v_add_f32_e32 v2, v2, v3
	v_cndmask_b32_e64 v11, 0, 4, vcc
	v_add_lshl_u32 v11, v11, v7, 2
	;; [unrolled: 6-line block ×4, first 2 shown]
	ds_bpermute_b32 v3, v3, v2
	s_waitcnt lgkmcnt(0)
	v_add_f32_e32 v2, v2, v3
	ds_bpermute_b32 v3, v9, v2
	s_waitcnt lgkmcnt(0)
	v_add_f32_e32 v3, v2, v3
	s_and_saveexec_b64 s[12:13], s[0:1]
; %bb.26:                               ;   in Loop: Header=BB6_20 Depth=1
	ds_write_b32 v1, v3 offset:8192
; %bb.27:                               ;   in Loop: Header=BB6_20 Depth=1
	s_or_b64 exec, exec, s[12:13]
	s_mov_b64 s[14:15], 0
	s_mov_b64 s[12:13], 0
	s_waitcnt lgkmcnt(0)
	s_barrier
                                        ; implicit-def: $vgpr2
	s_and_saveexec_b64 s[20:21], s[4:5]
	s_xor_b64 s[20:21], exec, s[20:21]
	s_cbranch_execz .LBB6_29
; %bb.28:                               ;   in Loop: Header=BB6_20 Depth=1
	ds_read_b32 v2, v6 offset:8196
	s_mov_b64 s[12:13], exec
	s_waitcnt lgkmcnt(0)
	v_add_f32_e32 v2, v3, v2
.LBB6_29:                               ;   in Loop: Header=BB6_20 Depth=1
	s_or_b64 exec, exec, s[20:21]
	s_and_b64 vcc, exec, s[14:15]
	s_cbranch_vccnz .LBB6_32
.LBB6_30:                               ;   in Loop: Header=BB6_20 Depth=1
	v_mov_b32_e32 v10, v2
	s_and_saveexec_b64 s[14:15], s[12:13]
	s_cbranch_execnz .LBB6_33
	s_branch .LBB6_34
.LBB6_31:                               ;   in Loop: Header=BB6_20 Depth=1
	s_mov_b64 s[12:13], 0
                                        ; implicit-def: $vgpr2
	s_cbranch_execz .LBB6_30
.LBB6_32:                               ;   in Loop: Header=BB6_20 Depth=1
	s_andn2_b64 s[12:13], s[12:13], exec
	s_and_b64 s[14:15], s[4:5], exec
	s_or_b64 s[12:13], s[12:13], s[14:15]
	s_and_saveexec_b64 s[14:15], s[12:13]
.LBB6_33:                               ;   in Loop: Header=BB6_20 Depth=1
	ds_write_b32 v6, v10 offset:8192
.LBB6_34:                               ;   in Loop: Header=BB6_20 Depth=1
	s_or_b64 exec, exec, s[14:15]
	s_waitcnt lgkmcnt(0)
	s_barrier
	s_and_saveexec_b64 s[12:13], s[6:7]
	s_cbranch_execz .LBB6_19
; %bb.35:                               ;   in Loop: Header=BB6_20 Depth=1
	global_load_dword v3, v6, s[2:3]
	ds_read_b32 v11, v6 offset:8192
	s_mov_b64 s[14:15], 0
	v_mov_b32_e32 v10, v4
	v_mov_b32_e32 v2, v5
	;; [unrolled: 1-line block ×3, first 2 shown]
	s_waitcnt vmcnt(0) lgkmcnt(0)
	v_mul_f32_e64 v11, v11, -v3
.LBB6_36:                               ;   Parent Loop BB6_20 Depth=1
                                        ; =>  This Inner Loop Header: Depth=2
	v_ashrrev_i32_e32 v3, 31, v2
	v_lshl_add_u64 v[14:15], v[2:3], 2, s[10:11]
	global_load_dword v3, v[14:15], off
	ds_read_b32 v13, v10
	v_add_u32_e32 v12, 0x80, v12
	v_cmp_le_i32_e32 vcc, s19, v12
	v_add_u32_e32 v10, 0x200, v10
	v_add_u32_e32 v2, s24, v2
	s_or_b64 s[14:15], vcc, s[14:15]
	s_waitcnt vmcnt(0) lgkmcnt(0)
	v_fmac_f32_e32 v3, v11, v13
	global_store_dword v[14:15], v3, off
	s_andn2_b64 exec, exec, s[14:15]
	s_cbranch_execnz .LBB6_36
	s_branch .LBB6_19
.LBB6_37:
	s_endpgm
	.section	.rodata,"a",@progbits
	.p2align	6, 0x0
	.amdhsa_kernel _ZN9rocsolver6v33100L23larf_right_kernel_smallILi128EfiPfEEvT1_S3_T2_lS3_lPKT0_lS4_lS3_l
		.amdhsa_group_segment_fixed_size 8200
		.amdhsa_private_segment_fixed_size 0
		.amdhsa_kernarg_size 88
		.amdhsa_user_sgpr_count 2
		.amdhsa_user_sgpr_dispatch_ptr 0
		.amdhsa_user_sgpr_queue_ptr 0
		.amdhsa_user_sgpr_kernarg_segment_ptr 1
		.amdhsa_user_sgpr_dispatch_id 0
		.amdhsa_user_sgpr_kernarg_preload_length 0
		.amdhsa_user_sgpr_kernarg_preload_offset 0
		.amdhsa_user_sgpr_private_segment_size 0
		.amdhsa_uses_dynamic_stack 0
		.amdhsa_enable_private_segment 0
		.amdhsa_system_sgpr_workgroup_id_x 1
		.amdhsa_system_sgpr_workgroup_id_y 1
		.amdhsa_system_sgpr_workgroup_id_z 0
		.amdhsa_system_sgpr_workgroup_info 0
		.amdhsa_system_vgpr_workitem_id 0
		.amdhsa_next_free_vgpr 31
		.amdhsa_next_free_sgpr 34
		.amdhsa_accum_offset 32
		.amdhsa_reserve_vcc 1
		.amdhsa_float_round_mode_32 0
		.amdhsa_float_round_mode_16_64 0
		.amdhsa_float_denorm_mode_32 3
		.amdhsa_float_denorm_mode_16_64 3
		.amdhsa_dx10_clamp 1
		.amdhsa_ieee_mode 1
		.amdhsa_fp16_overflow 0
		.amdhsa_tg_split 0
		.amdhsa_exception_fp_ieee_invalid_op 0
		.amdhsa_exception_fp_denorm_src 0
		.amdhsa_exception_fp_ieee_div_zero 0
		.amdhsa_exception_fp_ieee_overflow 0
		.amdhsa_exception_fp_ieee_underflow 0
		.amdhsa_exception_fp_ieee_inexact 0
		.amdhsa_exception_int_div_zero 0
	.end_amdhsa_kernel
	.section	.text._ZN9rocsolver6v33100L23larf_right_kernel_smallILi128EfiPfEEvT1_S3_T2_lS3_lPKT0_lS4_lS3_l,"axG",@progbits,_ZN9rocsolver6v33100L23larf_right_kernel_smallILi128EfiPfEEvT1_S3_T2_lS3_lPKT0_lS4_lS3_l,comdat
.Lfunc_end6:
	.size	_ZN9rocsolver6v33100L23larf_right_kernel_smallILi128EfiPfEEvT1_S3_T2_lS3_lPKT0_lS4_lS3_l, .Lfunc_end6-_ZN9rocsolver6v33100L23larf_right_kernel_smallILi128EfiPfEEvT1_S3_T2_lS3_lPKT0_lS4_lS3_l
                                        ; -- End function
	.set _ZN9rocsolver6v33100L23larf_right_kernel_smallILi128EfiPfEEvT1_S3_T2_lS3_lPKT0_lS4_lS3_l.num_vgpr, 31
	.set _ZN9rocsolver6v33100L23larf_right_kernel_smallILi128EfiPfEEvT1_S3_T2_lS3_lPKT0_lS4_lS3_l.num_agpr, 0
	.set _ZN9rocsolver6v33100L23larf_right_kernel_smallILi128EfiPfEEvT1_S3_T2_lS3_lPKT0_lS4_lS3_l.numbered_sgpr, 34
	.set _ZN9rocsolver6v33100L23larf_right_kernel_smallILi128EfiPfEEvT1_S3_T2_lS3_lPKT0_lS4_lS3_l.num_named_barrier, 0
	.set _ZN9rocsolver6v33100L23larf_right_kernel_smallILi128EfiPfEEvT1_S3_T2_lS3_lPKT0_lS4_lS3_l.private_seg_size, 0
	.set _ZN9rocsolver6v33100L23larf_right_kernel_smallILi128EfiPfEEvT1_S3_T2_lS3_lPKT0_lS4_lS3_l.uses_vcc, 1
	.set _ZN9rocsolver6v33100L23larf_right_kernel_smallILi128EfiPfEEvT1_S3_T2_lS3_lPKT0_lS4_lS3_l.uses_flat_scratch, 0
	.set _ZN9rocsolver6v33100L23larf_right_kernel_smallILi128EfiPfEEvT1_S3_T2_lS3_lPKT0_lS4_lS3_l.has_dyn_sized_stack, 0
	.set _ZN9rocsolver6v33100L23larf_right_kernel_smallILi128EfiPfEEvT1_S3_T2_lS3_lPKT0_lS4_lS3_l.has_recursion, 0
	.set _ZN9rocsolver6v33100L23larf_right_kernel_smallILi128EfiPfEEvT1_S3_T2_lS3_lPKT0_lS4_lS3_l.has_indirect_call, 0
	.section	.AMDGPU.csdata,"",@progbits
; Kernel info:
; codeLenInByte = 1968
; TotalNumSgprs: 40
; NumVgprs: 31
; NumAgprs: 0
; TotalNumVgprs: 31
; ScratchSize: 0
; MemoryBound: 0
; FloatMode: 240
; IeeeMode: 1
; LDSByteSize: 8200 bytes/workgroup (compile time only)
; SGPRBlocks: 4
; VGPRBlocks: 3
; NumSGPRsForWavesPerEU: 40
; NumVGPRsForWavesPerEU: 31
; AccumOffset: 32
; Occupancy: 8
; WaveLimiterHint : 0
; COMPUTE_PGM_RSRC2:SCRATCH_EN: 0
; COMPUTE_PGM_RSRC2:USER_SGPR: 2
; COMPUTE_PGM_RSRC2:TRAP_HANDLER: 0
; COMPUTE_PGM_RSRC2:TGID_X_EN: 1
; COMPUTE_PGM_RSRC2:TGID_Y_EN: 1
; COMPUTE_PGM_RSRC2:TGID_Z_EN: 0
; COMPUTE_PGM_RSRC2:TIDIG_COMP_CNT: 0
; COMPUTE_PGM_RSRC3_GFX90A:ACCUM_OFFSET: 7
; COMPUTE_PGM_RSRC3_GFX90A:TG_SPLIT: 0
	.section	.text._ZN9rocsolver6v33100L23larf_right_kernel_smallILi256EfiPfEEvT1_S3_T2_lS3_lPKT0_lS4_lS3_l,"axG",@progbits,_ZN9rocsolver6v33100L23larf_right_kernel_smallILi256EfiPfEEvT1_S3_T2_lS3_lPKT0_lS4_lS3_l,comdat
	.globl	_ZN9rocsolver6v33100L23larf_right_kernel_smallILi256EfiPfEEvT1_S3_T2_lS3_lPKT0_lS4_lS3_l ; -- Begin function _ZN9rocsolver6v33100L23larf_right_kernel_smallILi256EfiPfEEvT1_S3_T2_lS3_lPKT0_lS4_lS3_l
	.p2align	8
	.type	_ZN9rocsolver6v33100L23larf_right_kernel_smallILi256EfiPfEEvT1_S3_T2_lS3_lPKT0_lS4_lS3_l,@function
_ZN9rocsolver6v33100L23larf_right_kernel_smallILi256EfiPfEEvT1_S3_T2_lS3_lPKT0_lS4_lS3_l: ; @_ZN9rocsolver6v33100L23larf_right_kernel_smallILi256EfiPfEEvT1_S3_T2_lS3_lPKT0_lS4_lS3_l
; %bb.0:
	s_load_dwordx2 s[18:19], s[0:1], 0x0
	s_load_dwordx8 s[8:15], s[0:1], 0x20
	s_load_dwordx2 s[20:21], s[0:1], 0x40
	s_mov_b32 s16, s3
	s_ashr_i32 s3, s2, 31
	s_waitcnt lgkmcnt(0)
	v_cmp_gt_i32_e64 s[6:7], s19, v0
	s_and_saveexec_b64 s[22:23], s[6:7]
	s_cbranch_execz .LBB7_17
; %bb.1:
	s_load_dwordx4 s[24:27], s[0:1], 0x8
	s_load_dword s17, s[0:1], 0x18
	s_mul_i32 s4, s8, s3
	s_mul_hi_u32 s5, s8, s2
	s_add_i32 s4, s5, s4
	s_mul_i32 s5, s9, s2
	s_add_i32 s5, s4, s5
	s_mul_i32 s4, s8, s2
	s_lshl_b64 s[4:5], s[4:5], 2
	s_waitcnt lgkmcnt(0)
	s_add_u32 s8, s24, s4
	s_addc_u32 s9, s25, s5
	s_lshl_b64 s[4:5], s[26:27], 2
	s_add_u32 s24, s8, s4
	s_addc_u32 s25, s9, s5
	s_sub_i32 s4, 1, s19
	s_mul_i32 s4, s17, s4
	s_cmp_lt_i32 s17, 1
	s_cselect_b32 s30, s4, 0
	v_xad_u32 v2, v0, -1, s19
	s_movk_i32 s4, 0x16ff
	v_cmp_lt_u32_e32 vcc, s4, v2
	s_mov_b64 s[4:5], 0
                                        ; implicit-def: $vgpr1
                                        ; implicit-def: $vgpr4
	s_and_saveexec_b64 s[8:9], vcc
	s_xor_b64 s[26:27], exec, s[8:9]
	s_cbranch_execnz .LBB7_4
; %bb.2:
	s_andn2_saveexec_b64 s[8:9], s[26:27]
	s_cbranch_execnz .LBB7_14
.LBB7_3:
	s_or_b64 exec, exec, s[8:9]
	s_and_b64 exec, exec, s[4:5]
	s_cbranch_execnz .LBB7_15
	s_branch .LBB7_17
.LBB7_4:
	s_lshl_b32 s31, s17, 8
	s_sub_i32 s8, 0, s31
	s_cmp_lt_i32 s31, 0
	s_cselect_b64 vcc, -1, 0
	s_and_b64 s[4:5], vcc, exec
	v_lshrrev_b32_e32 v4, 8, v2
	s_cselect_b32 s8, s8, s31
	v_mul_lo_u32 v1, v0, s17
	v_mul_hi_u32 v2, s8, v4
	v_add_u32_e32 v1, s30, v1
	v_cmp_eq_u32_e64 s[4:5], 0, v2
	v_mul_lo_u32 v2, s8, v4
	v_add_u32_e32 v3, v1, v2
	v_sub_u32_e32 v2, v1, v2
	v_cmp_gt_i32_e64 s[8:9], v2, v1
	s_nop 1
	v_cndmask_b32_e64 v2, 0, 1, s[8:9]
	v_cmp_lt_i32_e64 s[8:9], v3, v1
	s_nop 1
	v_cndmask_b32_e64 v1, 0, 1, s[8:9]
	v_cndmask_b32_e32 v1, v1, v2, vcc
	v_and_b32_e32 v1, 1, v1
	v_cmp_eq_u32_e32 vcc, 1, v1
	s_xor_b64 s[28:29], vcc, -1
	s_mov_b64 s[8:9], -1
	s_and_b64 s[28:29], s[28:29], s[4:5]
	v_mov_b32_e32 v1, v0
	s_and_saveexec_b64 s[4:5], s[28:29]
	s_cbranch_execz .LBB7_13
; %bb.5:
	v_add_u32_e32 v2, -1, v4
	v_or_b32_e32 v1, 0x100, v0
	v_lshrrev_b32_e32 v3, 1, v2
	s_mov_b32 s33, 0
	v_add_u32_e32 v5, 1, v3
	v_cmp_lt_u32_e32 vcc, 5, v2
	v_mov_b32_e32 v8, 0
	v_mov_b64_e32 v[2:3], v[0:1]
	s_and_saveexec_b64 s[8:9], vcc
	s_cbranch_execz .LBB7_9
; %bb.6:
	v_and_b32_e32 v6, -4, v5
	v_lshlrev_b32_e32 v7, 2, v0
	s_mov_b64 s[28:29], 0
	v_mov_b64_e32 v[2:3], v[0:1]
.LBB7_7:                                ; =>This Inner Loop Header: Depth=1
	v_mul_lo_u32 v1, v3, s17
	v_mul_lo_u32 v8, v2, s17
	v_add_u32_e32 v9, 0x200, v2
	v_add_u32_e32 v11, 0x200, v3
	;; [unrolled: 1-line block ×8, first 2 shown]
	v_mul_lo_u32 v1, v11, s17
	v_mul_lo_u32 v16, v9, s17
	;; [unrolled: 1-line block ×6, first 2 shown]
	v_ashrrev_i32_e32 v9, 31, v8
	v_add_u32_e32 v12, s30, v16
	v_add_u32_e32 v14, s30, v1
	;; [unrolled: 1-line block ×6, first 2 shown]
	v_ashrrev_i32_e32 v11, 31, v10
	v_lshl_add_u64 v[8:9], v[8:9], 2, s[24:25]
	v_ashrrev_i32_e32 v15, 31, v14
	v_ashrrev_i32_e32 v13, 31, v12
	;; [unrolled: 1-line block ×6, first 2 shown]
	v_lshl_add_u64 v[10:11], v[10:11], 2, s[24:25]
	v_lshl_add_u64 v[12:13], v[12:13], 2, s[24:25]
	;; [unrolled: 1-line block ×7, first 2 shown]
	global_load_dword v1, v[8:9], off
	global_load_dword v24, v[10:11], off
	;; [unrolled: 1-line block ×8, first 2 shown]
	v_add_u32_e32 v6, -4, v6
	s_add_i32 s33, s33, 8
	v_cmp_eq_u32_e32 vcc, 0, v6
	v_add_u32_e32 v3, 0x800, v3
	v_add_u32_e32 v2, 0x800, v2
	v_mov_b32_e32 v8, s33
	s_or_b64 s[28:29], vcc, s[28:29]
	s_waitcnt vmcnt(6)
	ds_write2st64_b32 v7, v1, v24 offset1:4
	s_waitcnt vmcnt(4)
	ds_write2st64_b32 v7, v25, v26 offset0:8 offset1:12
	s_waitcnt vmcnt(2)
	ds_write2st64_b32 v7, v27, v28 offset0:16 offset1:20
	;; [unrolled: 2-line block ×3, first 2 shown]
	v_add_u32_e32 v7, 0x2000, v7
	s_andn2_b64 exec, exec, s[28:29]
	s_cbranch_execnz .LBB7_7
; %bb.8:
	s_or_b64 exec, exec, s[28:29]
.LBB7_9:
	s_or_b64 exec, exec, s[8:9]
	v_and_b32_e32 v1, 3, v5
	v_cmp_ne_u32_e32 vcc, 0, v1
	s_and_saveexec_b64 s[8:9], vcc
	s_cbranch_execz .LBB7_12
; %bb.10:
	v_lshlrev_b32_e32 v5, 2, v0
	v_lshl_or_b32 v5, v8, 10, v5
	s_mov_b64 s[28:29], 0
.LBB7_11:                               ; =>This Inner Loop Header: Depth=1
	v_mul_lo_u32 v6, v2, s17
	v_mul_lo_u32 v7, v3, s17
	v_add_u32_e32 v6, s30, v6
	v_add_u32_e32 v8, s30, v7
	v_ashrrev_i32_e32 v7, 31, v6
	v_ashrrev_i32_e32 v9, 31, v8
	v_lshl_add_u64 v[6:7], v[6:7], 2, s[24:25]
	v_lshl_add_u64 v[8:9], v[8:9], 2, s[24:25]
	global_load_dword v10, v[6:7], off
	global_load_dword v11, v[8:9], off
	v_add_u32_e32 v1, -1, v1
	v_cmp_eq_u32_e32 vcc, 0, v1
	v_add_u32_e32 v3, 0x200, v3
	v_add_u32_e32 v2, 0x200, v2
	s_or_b64 s[28:29], vcc, s[28:29]
	s_waitcnt vmcnt(0)
	ds_write2st64_b32 v5, v10, v11 offset1:4
	v_add_u32_e32 v5, 0x800, v5
	s_andn2_b64 exec, exec, s[28:29]
	s_cbranch_execnz .LBB7_11
.LBB7_12:
	s_or_b64 exec, exec, s[8:9]
	v_add_u32_e32 v2, 1, v4
	v_and_b32_e32 v3, 0x1fffffe, v2
	v_cmp_ne_u32_e32 vcc, v2, v3
	v_lshl_or_b32 v1, v3, 8, v0
	s_orn2_b64 s[8:9], vcc, exec
.LBB7_13:
	s_or_b64 exec, exec, s[4:5]
	v_mov_b32_e32 v4, s31
	s_and_b64 s[4:5], s[8:9], exec
	s_andn2_saveexec_b64 s[8:9], s[26:27]
	s_cbranch_execz .LBB7_3
.LBB7_14:
	s_lshl_b32 s26, s17, 8
	v_mov_b32_e32 v4, s26
	s_or_b64 s[4:5], s[4:5], exec
	v_mov_b32_e32 v1, v0
	s_or_b64 exec, exec, s[8:9]
	s_and_b64 exec, exec, s[4:5]
	s_cbranch_execz .LBB7_17
.LBB7_15:
	v_mul_lo_u32 v2, v1, s17
	v_add_u32_e32 v2, s30, v2
	v_lshlrev_b32_e32 v5, 2, v1
	s_mov_b64 s[4:5], 0
.LBB7_16:                               ; =>This Inner Loop Header: Depth=1
	v_ashrrev_i32_e32 v3, 31, v2
	v_lshl_add_u64 v[6:7], v[2:3], 2, s[24:25]
	global_load_dword v3, v[6:7], off
	v_add_u32_e32 v1, 0x100, v1
	v_cmp_le_i32_e32 vcc, s19, v1
	v_add_u32_e32 v2, v2, v4
	s_or_b64 s[4:5], vcc, s[4:5]
	s_waitcnt vmcnt(0)
	ds_write_b32 v5, v3
	v_add_u32_e32 v5, 0x400, v5
	s_andn2_b64 exec, exec, s[4:5]
	s_cbranch_execnz .LBB7_16
.LBB7_17:
	s_or_b64 exec, exec, s[22:23]
	s_cmp_ge_i32 s16, s18
	s_waitcnt lgkmcnt(0)
	s_barrier
	s_cbranch_scc1 .LBB7_37
; %bb.18:
	s_load_dwordx2 s[4:5], s[0:1], 0x50
	s_load_dword s17, s[0:1], 0x48
	v_mbcnt_lo_u32_b32 v2, -1, 0
	v_and_b32_e32 v1, 63, v0
	v_mbcnt_hi_u32_b32 v8, -1, v2
	s_waitcnt lgkmcnt(0)
	s_mul_i32 s1, s4, s3
	s_mul_hi_u32 s8, s4, s2
	s_mul_i32 s5, s5, s2
	s_add_i32 s1, s8, s1
	s_mul_i32 s0, s4, s2
	s_add_i32 s1, s1, s5
	s_lshl_b64 s[0:1], s[0:1], 2
	s_add_u32 s4, s14, s0
	s_addc_u32 s5, s15, s1
	s_lshl_b64 s[0:1], s[20:21], 2
	s_add_u32 s22, s4, s0
	s_addc_u32 s23, s5, s1
	s_mul_i32 s0, s12, s3
	s_mul_hi_u32 s1, s12, s2
	s_add_i32 s0, s1, s0
	s_mul_i32 s1, s13, s2
	s_add_i32 s1, s0, s1
	s_mul_i32 s0, s12, s2
	s_lshl_b64 s[0:1], s[0:1], 2
	s_add_u32 s2, s10, s0
	s_addc_u32 s3, s11, s1
	s_cmp_gt_i32 s19, 1
	v_mov_b32_e32 v2, 0x80
	s_cselect_b64 s[8:9], -1, 0
	v_cmp_eq_u32_e64 s[0:1], 0, v1
	v_lshrrev_b32_e32 v1, 4, v0
	v_cmp_eq_u32_e64 s[4:5], 0, v0
	v_lshlrev_b32_e32 v4, 2, v0
	v_mul_lo_u32 v5, v0, s17
	s_lshl_b32 s24, s17, 8
	v_mov_b32_e32 v6, 0x2004
	v_mov_b32_e32 v7, 0
	v_and_b32_e32 v9, 63, v8
	v_lshl_or_b32 v10, v8, 2, v2
	s_branch .LBB7_20
.LBB7_19:                               ;   in Loop: Header=BB7_20 Depth=1
	s_or_b64 exec, exec, s[12:13]
	s_add_i32 s16, s16, 64
	s_cmp_ge_i32 s16, s18
	s_cbranch_scc1 .LBB7_37
.LBB7_20:                               ; =>This Loop Header: Depth=1
                                        ;     Child Loop BB7_22 Depth 2
                                        ;     Child Loop BB7_36 Depth 2
	s_ashr_i32 s17, s16, 31
	s_lshl_b64 s[10:11], s[16:17], 2
	s_add_u32 s10, s22, s10
	s_addc_u32 s11, s23, s11
	v_mov_b32_e32 v11, 0
	s_and_saveexec_b64 s[12:13], s[6:7]
	s_cbranch_execz .LBB7_24
; %bb.21:                               ;   in Loop: Header=BB7_20 Depth=1
	v_mov_b32_e32 v11, 0
	s_mov_b64 s[14:15], 0
	v_mov_b32_e32 v2, v5
	v_mov_b32_e32 v12, v4
	;; [unrolled: 1-line block ×3, first 2 shown]
.LBB7_22:                               ;   Parent Loop BB7_20 Depth=1
                                        ; =>  This Inner Loop Header: Depth=2
	v_ashrrev_i32_e32 v3, 31, v2
	v_lshl_add_u64 v[14:15], v[2:3], 2, s[10:11]
	global_load_dword v3, v[14:15], off
	ds_read_b32 v14, v12
	v_add_u32_e32 v13, 0x100, v13
	v_cmp_le_i32_e32 vcc, s19, v13
	v_add_u32_e32 v12, 0x400, v12
	v_add_u32_e32 v2, s24, v2
	s_or_b64 s[14:15], vcc, s[14:15]
	s_waitcnt vmcnt(0) lgkmcnt(0)
	v_fmac_f32_e32 v11, v14, v3
	s_andn2_b64 exec, exec, s[14:15]
	s_cbranch_execnz .LBB7_22
; %bb.23:                               ;   in Loop: Header=BB7_20 Depth=1
	s_or_b64 exec, exec, s[14:15]
.LBB7_24:                               ;   in Loop: Header=BB7_20 Depth=1
	s_or_b64 exec, exec, s[12:13]
	s_and_b64 vcc, exec, s[8:9]
	s_cbranch_vccz .LBB7_31
; %bb.25:                               ;   in Loop: Header=BB7_20 Depth=1
	v_cmp_ne_u32_e32 vcc, 63, v9
	s_nop 1
	v_addc_co_u32_e32 v2, vcc, 0, v8, vcc
	v_lshlrev_b32_e32 v2, 2, v2
	ds_bpermute_b32 v2, v2, v11
	v_cmp_gt_u32_e32 vcc, 62, v9
	s_waitcnt lgkmcnt(0)
	v_add_f32_e32 v2, v11, v2
	v_cndmask_b32_e64 v3, 0, 2, vcc
	v_add_lshl_u32 v3, v3, v8, 2
	ds_bpermute_b32 v3, v3, v2
	v_cmp_gt_u32_e32 vcc, 60, v9
	s_waitcnt lgkmcnt(0)
	v_add_f32_e32 v2, v2, v3
	v_cndmask_b32_e64 v12, 0, 4, vcc
	v_add_lshl_u32 v12, v12, v8, 2
	;; [unrolled: 6-line block ×4, first 2 shown]
	ds_bpermute_b32 v3, v3, v2
	s_waitcnt lgkmcnt(0)
	v_add_f32_e32 v2, v2, v3
	ds_bpermute_b32 v3, v10, v2
	s_waitcnt lgkmcnt(0)
	v_add_f32_e32 v3, v2, v3
	s_and_saveexec_b64 s[12:13], s[0:1]
; %bb.26:                               ;   in Loop: Header=BB7_20 Depth=1
	ds_write_b32 v1, v3 offset:8192
; %bb.27:                               ;   in Loop: Header=BB7_20 Depth=1
	s_or_b64 exec, exec, s[12:13]
	s_mov_b64 s[14:15], 0
	s_mov_b64 s[12:13], 0
	s_waitcnt lgkmcnt(0)
	s_barrier
                                        ; implicit-def: $vgpr2
	s_and_saveexec_b64 s[20:21], s[4:5]
	s_xor_b64 s[20:21], exec, s[20:21]
	s_cbranch_execz .LBB7_29
; %bb.28:                               ;   in Loop: Header=BB7_20 Depth=1
	ds_read2_b32 v[12:13], v6 offset1:1
	ds_read_b32 v2, v7 offset:8204
	s_mov_b64 s[12:13], exec
	s_waitcnt lgkmcnt(1)
	v_add_f32_e32 v3, v3, v12
	v_add_f32_e32 v3, v3, v13
	s_waitcnt lgkmcnt(0)
	v_add_f32_e32 v2, v3, v2
.LBB7_29:                               ;   in Loop: Header=BB7_20 Depth=1
	s_or_b64 exec, exec, s[20:21]
	s_and_b64 vcc, exec, s[14:15]
	s_cbranch_vccnz .LBB7_32
.LBB7_30:                               ;   in Loop: Header=BB7_20 Depth=1
	v_mov_b32_e32 v11, v2
	s_and_saveexec_b64 s[14:15], s[12:13]
	s_cbranch_execnz .LBB7_33
	s_branch .LBB7_34
.LBB7_31:                               ;   in Loop: Header=BB7_20 Depth=1
	s_mov_b64 s[12:13], 0
                                        ; implicit-def: $vgpr2
	s_cbranch_execz .LBB7_30
.LBB7_32:                               ;   in Loop: Header=BB7_20 Depth=1
	s_andn2_b64 s[12:13], s[12:13], exec
	s_and_b64 s[14:15], s[4:5], exec
	s_or_b64 s[12:13], s[12:13], s[14:15]
	s_and_saveexec_b64 s[14:15], s[12:13]
.LBB7_33:                               ;   in Loop: Header=BB7_20 Depth=1
	ds_write_b32 v7, v11 offset:8192
.LBB7_34:                               ;   in Loop: Header=BB7_20 Depth=1
	s_or_b64 exec, exec, s[14:15]
	s_waitcnt lgkmcnt(0)
	s_barrier
	s_and_saveexec_b64 s[12:13], s[6:7]
	s_cbranch_execz .LBB7_19
; %bb.35:                               ;   in Loop: Header=BB7_20 Depth=1
	global_load_dword v3, v7, s[2:3]
	ds_read_b32 v12, v7 offset:8192
	s_mov_b64 s[14:15], 0
	v_mov_b32_e32 v11, v4
	v_mov_b32_e32 v2, v5
	v_mov_b32_e32 v13, v0
	s_waitcnt vmcnt(0) lgkmcnt(0)
	v_mul_f32_e64 v12, v12, -v3
.LBB7_36:                               ;   Parent Loop BB7_20 Depth=1
                                        ; =>  This Inner Loop Header: Depth=2
	v_ashrrev_i32_e32 v3, 31, v2
	v_lshl_add_u64 v[14:15], v[2:3], 2, s[10:11]
	global_load_dword v3, v[14:15], off
	ds_read_b32 v16, v11
	v_add_u32_e32 v13, 0x100, v13
	v_cmp_le_i32_e32 vcc, s19, v13
	v_add_u32_e32 v11, 0x400, v11
	v_add_u32_e32 v2, s24, v2
	s_or_b64 s[14:15], vcc, s[14:15]
	s_waitcnt vmcnt(0) lgkmcnt(0)
	v_fmac_f32_e32 v3, v12, v16
	global_store_dword v[14:15], v3, off
	s_andn2_b64 exec, exec, s[14:15]
	s_cbranch_execnz .LBB7_36
	s_branch .LBB7_19
.LBB7_37:
	s_endpgm
	.section	.rodata,"a",@progbits
	.p2align	6, 0x0
	.amdhsa_kernel _ZN9rocsolver6v33100L23larf_right_kernel_smallILi256EfiPfEEvT1_S3_T2_lS3_lPKT0_lS4_lS3_l
		.amdhsa_group_segment_fixed_size 8208
		.amdhsa_private_segment_fixed_size 0
		.amdhsa_kernarg_size 88
		.amdhsa_user_sgpr_count 2
		.amdhsa_user_sgpr_dispatch_ptr 0
		.amdhsa_user_sgpr_queue_ptr 0
		.amdhsa_user_sgpr_kernarg_segment_ptr 1
		.amdhsa_user_sgpr_dispatch_id 0
		.amdhsa_user_sgpr_kernarg_preload_length 0
		.amdhsa_user_sgpr_kernarg_preload_offset 0
		.amdhsa_user_sgpr_private_segment_size 0
		.amdhsa_uses_dynamic_stack 0
		.amdhsa_enable_private_segment 0
		.amdhsa_system_sgpr_workgroup_id_x 1
		.amdhsa_system_sgpr_workgroup_id_y 1
		.amdhsa_system_sgpr_workgroup_id_z 0
		.amdhsa_system_sgpr_workgroup_info 0
		.amdhsa_system_vgpr_workitem_id 0
		.amdhsa_next_free_vgpr 31
		.amdhsa_next_free_sgpr 34
		.amdhsa_accum_offset 32
		.amdhsa_reserve_vcc 1
		.amdhsa_float_round_mode_32 0
		.amdhsa_float_round_mode_16_64 0
		.amdhsa_float_denorm_mode_32 3
		.amdhsa_float_denorm_mode_16_64 3
		.amdhsa_dx10_clamp 1
		.amdhsa_ieee_mode 1
		.amdhsa_fp16_overflow 0
		.amdhsa_tg_split 0
		.amdhsa_exception_fp_ieee_invalid_op 0
		.amdhsa_exception_fp_denorm_src 0
		.amdhsa_exception_fp_ieee_div_zero 0
		.amdhsa_exception_fp_ieee_overflow 0
		.amdhsa_exception_fp_ieee_underflow 0
		.amdhsa_exception_fp_ieee_inexact 0
		.amdhsa_exception_int_div_zero 0
	.end_amdhsa_kernel
	.section	.text._ZN9rocsolver6v33100L23larf_right_kernel_smallILi256EfiPfEEvT1_S3_T2_lS3_lPKT0_lS4_lS3_l,"axG",@progbits,_ZN9rocsolver6v33100L23larf_right_kernel_smallILi256EfiPfEEvT1_S3_T2_lS3_lPKT0_lS4_lS3_l,comdat
.Lfunc_end7:
	.size	_ZN9rocsolver6v33100L23larf_right_kernel_smallILi256EfiPfEEvT1_S3_T2_lS3_lPKT0_lS4_lS3_l, .Lfunc_end7-_ZN9rocsolver6v33100L23larf_right_kernel_smallILi256EfiPfEEvT1_S3_T2_lS3_lPKT0_lS4_lS3_l
                                        ; -- End function
	.set _ZN9rocsolver6v33100L23larf_right_kernel_smallILi256EfiPfEEvT1_S3_T2_lS3_lPKT0_lS4_lS3_l.num_vgpr, 31
	.set _ZN9rocsolver6v33100L23larf_right_kernel_smallILi256EfiPfEEvT1_S3_T2_lS3_lPKT0_lS4_lS3_l.num_agpr, 0
	.set _ZN9rocsolver6v33100L23larf_right_kernel_smallILi256EfiPfEEvT1_S3_T2_lS3_lPKT0_lS4_lS3_l.numbered_sgpr, 34
	.set _ZN9rocsolver6v33100L23larf_right_kernel_smallILi256EfiPfEEvT1_S3_T2_lS3_lPKT0_lS4_lS3_l.num_named_barrier, 0
	.set _ZN9rocsolver6v33100L23larf_right_kernel_smallILi256EfiPfEEvT1_S3_T2_lS3_lPKT0_lS4_lS3_l.private_seg_size, 0
	.set _ZN9rocsolver6v33100L23larf_right_kernel_smallILi256EfiPfEEvT1_S3_T2_lS3_lPKT0_lS4_lS3_l.uses_vcc, 1
	.set _ZN9rocsolver6v33100L23larf_right_kernel_smallILi256EfiPfEEvT1_S3_T2_lS3_lPKT0_lS4_lS3_l.uses_flat_scratch, 0
	.set _ZN9rocsolver6v33100L23larf_right_kernel_smallILi256EfiPfEEvT1_S3_T2_lS3_lPKT0_lS4_lS3_l.has_dyn_sized_stack, 0
	.set _ZN9rocsolver6v33100L23larf_right_kernel_smallILi256EfiPfEEvT1_S3_T2_lS3_lPKT0_lS4_lS3_l.has_recursion, 0
	.set _ZN9rocsolver6v33100L23larf_right_kernel_smallILi256EfiPfEEvT1_S3_T2_lS3_lPKT0_lS4_lS3_l.has_indirect_call, 0
	.section	.AMDGPU.csdata,"",@progbits
; Kernel info:
; codeLenInByte = 1996
; TotalNumSgprs: 40
; NumVgprs: 31
; NumAgprs: 0
; TotalNumVgprs: 31
; ScratchSize: 0
; MemoryBound: 0
; FloatMode: 240
; IeeeMode: 1
; LDSByteSize: 8208 bytes/workgroup (compile time only)
; SGPRBlocks: 4
; VGPRBlocks: 3
; NumSGPRsForWavesPerEU: 40
; NumVGPRsForWavesPerEU: 31
; AccumOffset: 32
; Occupancy: 8
; WaveLimiterHint : 0
; COMPUTE_PGM_RSRC2:SCRATCH_EN: 0
; COMPUTE_PGM_RSRC2:USER_SGPR: 2
; COMPUTE_PGM_RSRC2:TRAP_HANDLER: 0
; COMPUTE_PGM_RSRC2:TGID_X_EN: 1
; COMPUTE_PGM_RSRC2:TGID_Y_EN: 1
; COMPUTE_PGM_RSRC2:TGID_Z_EN: 0
; COMPUTE_PGM_RSRC2:TIDIG_COMP_CNT: 0
; COMPUTE_PGM_RSRC3_GFX90A:ACCUM_OFFSET: 7
; COMPUTE_PGM_RSRC3_GFX90A:TG_SPLIT: 0
	.section	.text._ZN9rocsolver6v33100L23larf_right_kernel_smallILi512EfiPfEEvT1_S3_T2_lS3_lPKT0_lS4_lS3_l,"axG",@progbits,_ZN9rocsolver6v33100L23larf_right_kernel_smallILi512EfiPfEEvT1_S3_T2_lS3_lPKT0_lS4_lS3_l,comdat
	.globl	_ZN9rocsolver6v33100L23larf_right_kernel_smallILi512EfiPfEEvT1_S3_T2_lS3_lPKT0_lS4_lS3_l ; -- Begin function _ZN9rocsolver6v33100L23larf_right_kernel_smallILi512EfiPfEEvT1_S3_T2_lS3_lPKT0_lS4_lS3_l
	.p2align	8
	.type	_ZN9rocsolver6v33100L23larf_right_kernel_smallILi512EfiPfEEvT1_S3_T2_lS3_lPKT0_lS4_lS3_l,@function
_ZN9rocsolver6v33100L23larf_right_kernel_smallILi512EfiPfEEvT1_S3_T2_lS3_lPKT0_lS4_lS3_l: ; @_ZN9rocsolver6v33100L23larf_right_kernel_smallILi512EfiPfEEvT1_S3_T2_lS3_lPKT0_lS4_lS3_l
; %bb.0:
	s_load_dwordx2 s[18:19], s[0:1], 0x0
	s_load_dwordx8 s[8:15], s[0:1], 0x20
	s_load_dwordx2 s[20:21], s[0:1], 0x40
	s_mov_b32 s16, s3
	s_ashr_i32 s3, s2, 31
	s_waitcnt lgkmcnt(0)
	v_cmp_gt_i32_e64 s[6:7], s19, v0
	s_and_saveexec_b64 s[22:23], s[6:7]
	s_cbranch_execz .LBB8_17
; %bb.1:
	s_load_dwordx4 s[24:27], s[0:1], 0x8
	s_load_dword s17, s[0:1], 0x18
	s_mul_i32 s4, s8, s3
	s_mul_hi_u32 s5, s8, s2
	s_add_i32 s4, s5, s4
	s_mul_i32 s5, s9, s2
	s_add_i32 s5, s4, s5
	s_mul_i32 s4, s8, s2
	s_lshl_b64 s[4:5], s[4:5], 2
	s_waitcnt lgkmcnt(0)
	s_add_u32 s8, s24, s4
	s_addc_u32 s9, s25, s5
	s_lshl_b64 s[4:5], s[26:27], 2
	s_add_u32 s24, s8, s4
	s_addc_u32 s25, s9, s5
	s_sub_i32 s4, 1, s19
	s_mul_i32 s4, s17, s4
	s_cmp_lt_i32 s17, 1
	s_cselect_b32 s30, s4, 0
	v_xad_u32 v2, v0, -1, s19
	s_movk_i32 s4, 0x2dff
	v_cmp_lt_u32_e32 vcc, s4, v2
	s_mov_b64 s[4:5], 0
                                        ; implicit-def: $vgpr1
                                        ; implicit-def: $vgpr4
	s_and_saveexec_b64 s[8:9], vcc
	s_xor_b64 s[26:27], exec, s[8:9]
	s_cbranch_execnz .LBB8_4
; %bb.2:
	s_andn2_saveexec_b64 s[8:9], s[26:27]
	s_cbranch_execnz .LBB8_14
.LBB8_3:
	s_or_b64 exec, exec, s[8:9]
	s_and_b64 exec, exec, s[4:5]
	s_cbranch_execnz .LBB8_15
	s_branch .LBB8_17
.LBB8_4:
	s_lshl_b32 s31, s17, 9
	s_sub_i32 s8, 0, s31
	s_cmp_lt_i32 s31, 0
	s_cselect_b64 vcc, -1, 0
	s_and_b64 s[4:5], vcc, exec
	v_lshrrev_b32_e32 v4, 9, v2
	s_cselect_b32 s8, s8, s31
	v_mul_lo_u32 v1, v0, s17
	v_mul_hi_u32 v2, s8, v4
	v_add_u32_e32 v1, s30, v1
	v_cmp_eq_u32_e64 s[4:5], 0, v2
	v_mul_lo_u32 v2, s8, v4
	v_add_u32_e32 v3, v1, v2
	v_sub_u32_e32 v2, v1, v2
	v_cmp_gt_i32_e64 s[8:9], v2, v1
	s_nop 1
	v_cndmask_b32_e64 v2, 0, 1, s[8:9]
	v_cmp_lt_i32_e64 s[8:9], v3, v1
	s_nop 1
	v_cndmask_b32_e64 v1, 0, 1, s[8:9]
	v_cndmask_b32_e32 v1, v1, v2, vcc
	v_and_b32_e32 v1, 1, v1
	v_cmp_eq_u32_e32 vcc, 1, v1
	s_xor_b64 s[28:29], vcc, -1
	s_mov_b64 s[8:9], -1
	s_and_b64 s[28:29], s[28:29], s[4:5]
	v_mov_b32_e32 v1, v0
	s_and_saveexec_b64 s[4:5], s[28:29]
	s_cbranch_execz .LBB8_13
; %bb.5:
	v_add_u32_e32 v2, -1, v4
	v_or_b32_e32 v1, 0x200, v0
	v_lshrrev_b32_e32 v3, 1, v2
	s_mov_b32 s33, 0
	v_add_u32_e32 v5, 1, v3
	v_cmp_lt_u32_e32 vcc, 5, v2
	v_mov_b32_e32 v8, 0
	v_mov_b64_e32 v[2:3], v[0:1]
	s_and_saveexec_b64 s[8:9], vcc
	s_cbranch_execz .LBB8_9
; %bb.6:
	v_and_b32_e32 v6, -4, v5
	v_lshlrev_b32_e32 v7, 2, v0
	s_mov_b64 s[28:29], 0
	v_mov_b64_e32 v[2:3], v[0:1]
.LBB8_7:                                ; =>This Inner Loop Header: Depth=1
	v_mul_lo_u32 v1, v3, s17
	v_mul_lo_u32 v8, v2, s17
	v_add_u32_e32 v9, 0x400, v2
	v_add_u32_e32 v11, 0x400, v3
	;; [unrolled: 1-line block ×8, first 2 shown]
	v_mul_lo_u32 v1, v11, s17
	v_mul_lo_u32 v16, v9, s17
	;; [unrolled: 1-line block ×6, first 2 shown]
	v_ashrrev_i32_e32 v9, 31, v8
	v_add_u32_e32 v12, s30, v16
	v_add_u32_e32 v14, s30, v1
	;; [unrolled: 1-line block ×6, first 2 shown]
	v_ashrrev_i32_e32 v11, 31, v10
	v_lshl_add_u64 v[8:9], v[8:9], 2, s[24:25]
	v_ashrrev_i32_e32 v15, 31, v14
	v_ashrrev_i32_e32 v13, 31, v12
	;; [unrolled: 1-line block ×6, first 2 shown]
	v_lshl_add_u64 v[10:11], v[10:11], 2, s[24:25]
	v_lshl_add_u64 v[12:13], v[12:13], 2, s[24:25]
	;; [unrolled: 1-line block ×7, first 2 shown]
	global_load_dword v1, v[8:9], off
	global_load_dword v24, v[10:11], off
	;; [unrolled: 1-line block ×8, first 2 shown]
	v_add_u32_e32 v6, -4, v6
	s_add_i32 s33, s33, 8
	v_cmp_eq_u32_e32 vcc, 0, v6
	v_add_u32_e32 v3, 0x1000, v3
	v_add_u32_e32 v2, 0x1000, v2
	v_mov_b32_e32 v8, s33
	s_or_b64 s[28:29], vcc, s[28:29]
	s_waitcnt vmcnt(6)
	ds_write2st64_b32 v7, v1, v24 offset1:8
	s_waitcnt vmcnt(4)
	ds_write2st64_b32 v7, v25, v26 offset0:16 offset1:24
	s_waitcnt vmcnt(2)
	ds_write2st64_b32 v7, v27, v28 offset0:32 offset1:40
	s_waitcnt vmcnt(0)
	ds_write2st64_b32 v7, v29, v30 offset0:48 offset1:56
	v_add_u32_e32 v7, 0x4000, v7
	s_andn2_b64 exec, exec, s[28:29]
	s_cbranch_execnz .LBB8_7
; %bb.8:
	s_or_b64 exec, exec, s[28:29]
.LBB8_9:
	s_or_b64 exec, exec, s[8:9]
	v_and_b32_e32 v1, 3, v5
	v_cmp_ne_u32_e32 vcc, 0, v1
	s_and_saveexec_b64 s[8:9], vcc
	s_cbranch_execz .LBB8_12
; %bb.10:
	v_lshlrev_b32_e32 v5, 2, v0
	v_lshl_or_b32 v5, v8, 11, v5
	s_mov_b64 s[28:29], 0
.LBB8_11:                               ; =>This Inner Loop Header: Depth=1
	v_mul_lo_u32 v6, v2, s17
	v_mul_lo_u32 v7, v3, s17
	v_add_u32_e32 v6, s30, v6
	v_add_u32_e32 v8, s30, v7
	v_ashrrev_i32_e32 v7, 31, v6
	v_ashrrev_i32_e32 v9, 31, v8
	v_lshl_add_u64 v[6:7], v[6:7], 2, s[24:25]
	v_lshl_add_u64 v[8:9], v[8:9], 2, s[24:25]
	global_load_dword v10, v[6:7], off
	global_load_dword v11, v[8:9], off
	v_add_u32_e32 v1, -1, v1
	v_cmp_eq_u32_e32 vcc, 0, v1
	v_add_u32_e32 v3, 0x400, v3
	v_add_u32_e32 v2, 0x400, v2
	s_or_b64 s[28:29], vcc, s[28:29]
	s_waitcnt vmcnt(0)
	ds_write2st64_b32 v5, v10, v11 offset1:8
	v_add_u32_e32 v5, 0x1000, v5
	s_andn2_b64 exec, exec, s[28:29]
	s_cbranch_execnz .LBB8_11
.LBB8_12:
	s_or_b64 exec, exec, s[8:9]
	v_add_u32_e32 v2, 1, v4
	v_and_b32_e32 v3, 0xfffffe, v2
	v_cmp_ne_u32_e32 vcc, v2, v3
	v_lshl_or_b32 v1, v3, 9, v0
	s_orn2_b64 s[8:9], vcc, exec
.LBB8_13:
	s_or_b64 exec, exec, s[4:5]
	v_mov_b32_e32 v4, s31
	s_and_b64 s[4:5], s[8:9], exec
	s_andn2_saveexec_b64 s[8:9], s[26:27]
	s_cbranch_execz .LBB8_3
.LBB8_14:
	s_lshl_b32 s26, s17, 9
	v_mov_b32_e32 v4, s26
	s_or_b64 s[4:5], s[4:5], exec
	v_mov_b32_e32 v1, v0
	s_or_b64 exec, exec, s[8:9]
	s_and_b64 exec, exec, s[4:5]
	s_cbranch_execz .LBB8_17
.LBB8_15:
	v_mul_lo_u32 v2, v1, s17
	v_add_u32_e32 v2, s30, v2
	v_lshlrev_b32_e32 v5, 2, v1
	s_mov_b64 s[4:5], 0
.LBB8_16:                               ; =>This Inner Loop Header: Depth=1
	v_ashrrev_i32_e32 v3, 31, v2
	v_lshl_add_u64 v[6:7], v[2:3], 2, s[24:25]
	global_load_dword v3, v[6:7], off
	v_add_u32_e32 v1, 0x200, v1
	v_cmp_le_i32_e32 vcc, s19, v1
	v_add_u32_e32 v2, v2, v4
	s_or_b64 s[4:5], vcc, s[4:5]
	s_waitcnt vmcnt(0)
	ds_write_b32 v5, v3
	v_add_u32_e32 v5, 0x800, v5
	s_andn2_b64 exec, exec, s[4:5]
	s_cbranch_execnz .LBB8_16
.LBB8_17:
	s_or_b64 exec, exec, s[22:23]
	s_cmp_ge_i32 s16, s18
	s_waitcnt lgkmcnt(0)
	s_barrier
	s_cbranch_scc1 .LBB8_37
; %bb.18:
	s_load_dwordx2 s[4:5], s[0:1], 0x50
	s_load_dword s17, s[0:1], 0x48
	v_mbcnt_lo_u32_b32 v2, -1, 0
	v_and_b32_e32 v1, 63, v0
	v_mbcnt_hi_u32_b32 v10, -1, v2
	s_waitcnt lgkmcnt(0)
	s_mul_i32 s1, s4, s3
	s_mul_hi_u32 s8, s4, s2
	s_mul_i32 s5, s5, s2
	s_add_i32 s1, s8, s1
	s_mul_i32 s0, s4, s2
	s_add_i32 s1, s1, s5
	s_lshl_b64 s[0:1], s[0:1], 2
	s_add_u32 s4, s14, s0
	s_addc_u32 s5, s15, s1
	s_lshl_b64 s[0:1], s[20:21], 2
	s_add_u32 s22, s4, s0
	s_addc_u32 s23, s5, s1
	s_mul_i32 s0, s12, s3
	s_mul_hi_u32 s1, s12, s2
	s_add_i32 s0, s1, s0
	s_mul_i32 s1, s13, s2
	s_add_i32 s1, s0, s1
	s_mul_i32 s0, s12, s2
	s_lshl_b64 s[0:1], s[0:1], 2
	s_add_u32 s2, s10, s0
	s_addc_u32 s3, s11, s1
	s_cmp_gt_i32 s19, 1
	v_mov_b32_e32 v2, 0x80
	s_cselect_b64 s[8:9], -1, 0
	v_cmp_eq_u32_e64 s[0:1], 0, v1
	v_lshrrev_b32_e32 v1, 4, v0
	v_cmp_eq_u32_e64 s[4:5], 0, v0
	v_lshlrev_b32_e32 v4, 2, v0
	v_mul_lo_u32 v5, v0, s17
	s_lshl_b32 s24, s17, 9
	v_mov_b32_e32 v6, 0x2004
	v_mov_b32_e32 v7, 0x200c
	;; [unrolled: 1-line block ×4, first 2 shown]
	v_and_b32_e32 v11, 63, v10
	v_lshl_or_b32 v12, v10, 2, v2
	s_branch .LBB8_20
.LBB8_19:                               ;   in Loop: Header=BB8_20 Depth=1
	s_or_b64 exec, exec, s[12:13]
	s_add_i32 s16, s16, 64
	s_cmp_ge_i32 s16, s18
	s_cbranch_scc1 .LBB8_37
.LBB8_20:                               ; =>This Loop Header: Depth=1
                                        ;     Child Loop BB8_22 Depth 2
                                        ;     Child Loop BB8_36 Depth 2
	s_ashr_i32 s17, s16, 31
	s_lshl_b64 s[10:11], s[16:17], 2
	s_add_u32 s10, s22, s10
	s_addc_u32 s11, s23, s11
	v_mov_b32_e32 v13, 0
	s_and_saveexec_b64 s[12:13], s[6:7]
	s_cbranch_execz .LBB8_24
; %bb.21:                               ;   in Loop: Header=BB8_20 Depth=1
	v_mov_b32_e32 v13, 0
	s_mov_b64 s[14:15], 0
	v_mov_b32_e32 v2, v5
	v_mov_b32_e32 v14, v4
	v_mov_b32_e32 v15, v0
.LBB8_22:                               ;   Parent Loop BB8_20 Depth=1
                                        ; =>  This Inner Loop Header: Depth=2
	v_ashrrev_i32_e32 v3, 31, v2
	v_lshl_add_u64 v[16:17], v[2:3], 2, s[10:11]
	global_load_dword v3, v[16:17], off
	ds_read_b32 v16, v14
	v_add_u32_e32 v15, 0x200, v15
	v_cmp_le_i32_e32 vcc, s19, v15
	v_add_u32_e32 v14, 0x800, v14
	v_add_u32_e32 v2, s24, v2
	s_or_b64 s[14:15], vcc, s[14:15]
	s_waitcnt vmcnt(0) lgkmcnt(0)
	v_fmac_f32_e32 v13, v16, v3
	s_andn2_b64 exec, exec, s[14:15]
	s_cbranch_execnz .LBB8_22
; %bb.23:                               ;   in Loop: Header=BB8_20 Depth=1
	s_or_b64 exec, exec, s[14:15]
.LBB8_24:                               ;   in Loop: Header=BB8_20 Depth=1
	s_or_b64 exec, exec, s[12:13]
	s_and_b64 vcc, exec, s[8:9]
	s_cbranch_vccz .LBB8_31
; %bb.25:                               ;   in Loop: Header=BB8_20 Depth=1
	v_cmp_ne_u32_e32 vcc, 63, v11
	s_nop 1
	v_addc_co_u32_e32 v2, vcc, 0, v10, vcc
	v_lshlrev_b32_e32 v2, 2, v2
	ds_bpermute_b32 v2, v2, v13
	v_cmp_gt_u32_e32 vcc, 62, v11
	s_waitcnt lgkmcnt(0)
	v_add_f32_e32 v2, v13, v2
	v_cndmask_b32_e64 v3, 0, 2, vcc
	v_add_lshl_u32 v3, v3, v10, 2
	ds_bpermute_b32 v3, v3, v2
	v_cmp_gt_u32_e32 vcc, 60, v11
	s_waitcnt lgkmcnt(0)
	v_add_f32_e32 v2, v2, v3
	v_cndmask_b32_e64 v14, 0, 4, vcc
	v_add_lshl_u32 v14, v14, v10, 2
	;; [unrolled: 6-line block ×4, first 2 shown]
	ds_bpermute_b32 v3, v3, v2
	s_waitcnt lgkmcnt(0)
	v_add_f32_e32 v2, v2, v3
	ds_bpermute_b32 v3, v12, v2
	s_waitcnt lgkmcnt(0)
	v_add_f32_e32 v2, v2, v3
	s_and_saveexec_b64 s[12:13], s[0:1]
; %bb.26:                               ;   in Loop: Header=BB8_20 Depth=1
	ds_write_b32 v1, v2 offset:8192
; %bb.27:                               ;   in Loop: Header=BB8_20 Depth=1
	s_or_b64 exec, exec, s[12:13]
	s_mov_b64 s[14:15], 0
	s_mov_b64 s[12:13], 0
	s_waitcnt lgkmcnt(0)
	s_barrier
                                        ; implicit-def: $vgpr3
	s_and_saveexec_b64 s[20:21], s[4:5]
	s_xor_b64 s[20:21], exec, s[20:21]
	s_cbranch_execz .LBB8_29
; %bb.28:                               ;   in Loop: Header=BB8_20 Depth=1
	ds_read2_b32 v[14:15], v6 offset1:1
	ds_read2_b32 v[16:17], v7 offset1:1
	;; [unrolled: 1-line block ×3, first 2 shown]
	ds_read_b32 v3, v9 offset:8220
	s_mov_b64 s[12:13], exec
	s_waitcnt lgkmcnt(3)
	v_add_f32_e32 v2, v2, v14
	v_add_f32_e32 v2, v2, v15
	s_waitcnt lgkmcnt(2)
	v_add_f32_e32 v2, v2, v16
	v_add_f32_e32 v2, v2, v17
	;; [unrolled: 3-line block ×3, first 2 shown]
	s_waitcnt lgkmcnt(0)
	v_add_f32_e32 v3, v2, v3
.LBB8_29:                               ;   in Loop: Header=BB8_20 Depth=1
	s_or_b64 exec, exec, s[20:21]
	s_and_b64 vcc, exec, s[14:15]
	s_cbranch_vccnz .LBB8_32
.LBB8_30:                               ;   in Loop: Header=BB8_20 Depth=1
	v_mov_b32_e32 v13, v3
	s_and_saveexec_b64 s[14:15], s[12:13]
	s_cbranch_execnz .LBB8_33
	s_branch .LBB8_34
.LBB8_31:                               ;   in Loop: Header=BB8_20 Depth=1
	s_mov_b64 s[12:13], 0
                                        ; implicit-def: $vgpr3
	s_cbranch_execz .LBB8_30
.LBB8_32:                               ;   in Loop: Header=BB8_20 Depth=1
	s_andn2_b64 s[12:13], s[12:13], exec
	s_and_b64 s[14:15], s[4:5], exec
	s_or_b64 s[12:13], s[12:13], s[14:15]
	s_and_saveexec_b64 s[14:15], s[12:13]
.LBB8_33:                               ;   in Loop: Header=BB8_20 Depth=1
	ds_write_b32 v9, v13 offset:8192
.LBB8_34:                               ;   in Loop: Header=BB8_20 Depth=1
	s_or_b64 exec, exec, s[14:15]
	s_waitcnt lgkmcnt(0)
	s_barrier
	s_and_saveexec_b64 s[12:13], s[6:7]
	s_cbranch_execz .LBB8_19
; %bb.35:                               ;   in Loop: Header=BB8_20 Depth=1
	global_load_dword v3, v9, s[2:3]
	ds_read_b32 v14, v9 offset:8192
	s_mov_b64 s[14:15], 0
	v_mov_b32_e32 v13, v4
	v_mov_b32_e32 v2, v5
	;; [unrolled: 1-line block ×3, first 2 shown]
	s_waitcnt vmcnt(0) lgkmcnt(0)
	v_mul_f32_e64 v14, v14, -v3
.LBB8_36:                               ;   Parent Loop BB8_20 Depth=1
                                        ; =>  This Inner Loop Header: Depth=2
	v_ashrrev_i32_e32 v3, 31, v2
	v_lshl_add_u64 v[16:17], v[2:3], 2, s[10:11]
	global_load_dword v3, v[16:17], off
	ds_read_b32 v18, v13
	v_add_u32_e32 v15, 0x200, v15
	v_cmp_le_i32_e32 vcc, s19, v15
	v_add_u32_e32 v13, 0x800, v13
	v_add_u32_e32 v2, s24, v2
	s_or_b64 s[14:15], vcc, s[14:15]
	s_waitcnt vmcnt(0) lgkmcnt(0)
	v_fmac_f32_e32 v3, v14, v18
	global_store_dword v[16:17], v3, off
	s_andn2_b64 exec, exec, s[14:15]
	s_cbranch_execnz .LBB8_36
	s_branch .LBB8_19
.LBB8_37:
	s_endpgm
	.section	.rodata,"a",@progbits
	.p2align	6, 0x0
	.amdhsa_kernel _ZN9rocsolver6v33100L23larf_right_kernel_smallILi512EfiPfEEvT1_S3_T2_lS3_lPKT0_lS4_lS3_l
		.amdhsa_group_segment_fixed_size 8224
		.amdhsa_private_segment_fixed_size 0
		.amdhsa_kernarg_size 88
		.amdhsa_user_sgpr_count 2
		.amdhsa_user_sgpr_dispatch_ptr 0
		.amdhsa_user_sgpr_queue_ptr 0
		.amdhsa_user_sgpr_kernarg_segment_ptr 1
		.amdhsa_user_sgpr_dispatch_id 0
		.amdhsa_user_sgpr_kernarg_preload_length 0
		.amdhsa_user_sgpr_kernarg_preload_offset 0
		.amdhsa_user_sgpr_private_segment_size 0
		.amdhsa_uses_dynamic_stack 0
		.amdhsa_enable_private_segment 0
		.amdhsa_system_sgpr_workgroup_id_x 1
		.amdhsa_system_sgpr_workgroup_id_y 1
		.amdhsa_system_sgpr_workgroup_id_z 0
		.amdhsa_system_sgpr_workgroup_info 0
		.amdhsa_system_vgpr_workitem_id 0
		.amdhsa_next_free_vgpr 31
		.amdhsa_next_free_sgpr 34
		.amdhsa_accum_offset 32
		.amdhsa_reserve_vcc 1
		.amdhsa_float_round_mode_32 0
		.amdhsa_float_round_mode_16_64 0
		.amdhsa_float_denorm_mode_32 3
		.amdhsa_float_denorm_mode_16_64 3
		.amdhsa_dx10_clamp 1
		.amdhsa_ieee_mode 1
		.amdhsa_fp16_overflow 0
		.amdhsa_tg_split 0
		.amdhsa_exception_fp_ieee_invalid_op 0
		.amdhsa_exception_fp_denorm_src 0
		.amdhsa_exception_fp_ieee_div_zero 0
		.amdhsa_exception_fp_ieee_overflow 0
		.amdhsa_exception_fp_ieee_underflow 0
		.amdhsa_exception_fp_ieee_inexact 0
		.amdhsa_exception_int_div_zero 0
	.end_amdhsa_kernel
	.section	.text._ZN9rocsolver6v33100L23larf_right_kernel_smallILi512EfiPfEEvT1_S3_T2_lS3_lPKT0_lS4_lS3_l,"axG",@progbits,_ZN9rocsolver6v33100L23larf_right_kernel_smallILi512EfiPfEEvT1_S3_T2_lS3_lPKT0_lS4_lS3_l,comdat
.Lfunc_end8:
	.size	_ZN9rocsolver6v33100L23larf_right_kernel_smallILi512EfiPfEEvT1_S3_T2_lS3_lPKT0_lS4_lS3_l, .Lfunc_end8-_ZN9rocsolver6v33100L23larf_right_kernel_smallILi512EfiPfEEvT1_S3_T2_lS3_lPKT0_lS4_lS3_l
                                        ; -- End function
	.set _ZN9rocsolver6v33100L23larf_right_kernel_smallILi512EfiPfEEvT1_S3_T2_lS3_lPKT0_lS4_lS3_l.num_vgpr, 31
	.set _ZN9rocsolver6v33100L23larf_right_kernel_smallILi512EfiPfEEvT1_S3_T2_lS3_lPKT0_lS4_lS3_l.num_agpr, 0
	.set _ZN9rocsolver6v33100L23larf_right_kernel_smallILi512EfiPfEEvT1_S3_T2_lS3_lPKT0_lS4_lS3_l.numbered_sgpr, 34
	.set _ZN9rocsolver6v33100L23larf_right_kernel_smallILi512EfiPfEEvT1_S3_T2_lS3_lPKT0_lS4_lS3_l.num_named_barrier, 0
	.set _ZN9rocsolver6v33100L23larf_right_kernel_smallILi512EfiPfEEvT1_S3_T2_lS3_lPKT0_lS4_lS3_l.private_seg_size, 0
	.set _ZN9rocsolver6v33100L23larf_right_kernel_smallILi512EfiPfEEvT1_S3_T2_lS3_lPKT0_lS4_lS3_l.uses_vcc, 1
	.set _ZN9rocsolver6v33100L23larf_right_kernel_smallILi512EfiPfEEvT1_S3_T2_lS3_lPKT0_lS4_lS3_l.uses_flat_scratch, 0
	.set _ZN9rocsolver6v33100L23larf_right_kernel_smallILi512EfiPfEEvT1_S3_T2_lS3_lPKT0_lS4_lS3_l.has_dyn_sized_stack, 0
	.set _ZN9rocsolver6v33100L23larf_right_kernel_smallILi512EfiPfEEvT1_S3_T2_lS3_lPKT0_lS4_lS3_l.has_recursion, 0
	.set _ZN9rocsolver6v33100L23larf_right_kernel_smallILi512EfiPfEEvT1_S3_T2_lS3_lPKT0_lS4_lS3_l.has_indirect_call, 0
	.section	.AMDGPU.csdata,"",@progbits
; Kernel info:
; codeLenInByte = 2052
; TotalNumSgprs: 40
; NumVgprs: 31
; NumAgprs: 0
; TotalNumVgprs: 31
; ScratchSize: 0
; MemoryBound: 0
; FloatMode: 240
; IeeeMode: 1
; LDSByteSize: 8224 bytes/workgroup (compile time only)
; SGPRBlocks: 4
; VGPRBlocks: 3
; NumSGPRsForWavesPerEU: 40
; NumVGPRsForWavesPerEU: 31
; AccumOffset: 32
; Occupancy: 8
; WaveLimiterHint : 0
; COMPUTE_PGM_RSRC2:SCRATCH_EN: 0
; COMPUTE_PGM_RSRC2:USER_SGPR: 2
; COMPUTE_PGM_RSRC2:TRAP_HANDLER: 0
; COMPUTE_PGM_RSRC2:TGID_X_EN: 1
; COMPUTE_PGM_RSRC2:TGID_Y_EN: 1
; COMPUTE_PGM_RSRC2:TGID_Z_EN: 0
; COMPUTE_PGM_RSRC2:TIDIG_COMP_CNT: 0
; COMPUTE_PGM_RSRC3_GFX90A:ACCUM_OFFSET: 7
; COMPUTE_PGM_RSRC3_GFX90A:TG_SPLIT: 0
	.section	.text._ZN9rocsolver6v33100L23larf_right_kernel_smallILi1024EfiPfEEvT1_S3_T2_lS3_lPKT0_lS4_lS3_l,"axG",@progbits,_ZN9rocsolver6v33100L23larf_right_kernel_smallILi1024EfiPfEEvT1_S3_T2_lS3_lPKT0_lS4_lS3_l,comdat
	.globl	_ZN9rocsolver6v33100L23larf_right_kernel_smallILi1024EfiPfEEvT1_S3_T2_lS3_lPKT0_lS4_lS3_l ; -- Begin function _ZN9rocsolver6v33100L23larf_right_kernel_smallILi1024EfiPfEEvT1_S3_T2_lS3_lPKT0_lS4_lS3_l
	.p2align	8
	.type	_ZN9rocsolver6v33100L23larf_right_kernel_smallILi1024EfiPfEEvT1_S3_T2_lS3_lPKT0_lS4_lS3_l,@function
_ZN9rocsolver6v33100L23larf_right_kernel_smallILi1024EfiPfEEvT1_S3_T2_lS3_lPKT0_lS4_lS3_l: ; @_ZN9rocsolver6v33100L23larf_right_kernel_smallILi1024EfiPfEEvT1_S3_T2_lS3_lPKT0_lS4_lS3_l
; %bb.0:
	s_load_dwordx2 s[18:19], s[0:1], 0x0
	s_load_dwordx8 s[8:15], s[0:1], 0x20
	s_load_dwordx2 s[20:21], s[0:1], 0x40
	s_mov_b32 s16, s3
	s_ashr_i32 s3, s2, 31
	s_waitcnt lgkmcnt(0)
	v_cmp_gt_i32_e64 s[6:7], s19, v0
	s_and_saveexec_b64 s[22:23], s[6:7]
	s_cbranch_execz .LBB9_17
; %bb.1:
	s_load_dwordx4 s[24:27], s[0:1], 0x8
	s_load_dword s17, s[0:1], 0x18
	s_mul_i32 s4, s8, s3
	s_mul_hi_u32 s5, s8, s2
	s_add_i32 s4, s5, s4
	s_mul_i32 s5, s9, s2
	s_add_i32 s5, s4, s5
	s_mul_i32 s4, s8, s2
	s_lshl_b64 s[4:5], s[4:5], 2
	s_waitcnt lgkmcnt(0)
	s_add_u32 s8, s24, s4
	s_addc_u32 s9, s25, s5
	s_lshl_b64 s[4:5], s[26:27], 2
	s_add_u32 s24, s8, s4
	s_addc_u32 s25, s9, s5
	s_sub_i32 s4, 1, s19
	s_mul_i32 s4, s17, s4
	s_cmp_lt_i32 s17, 1
	s_cselect_b32 s30, s4, 0
	v_xad_u32 v2, v0, -1, s19
	s_movk_i32 s4, 0x5bff
	v_cmp_lt_u32_e32 vcc, s4, v2
	s_mov_b64 s[4:5], 0
                                        ; implicit-def: $vgpr1
                                        ; implicit-def: $vgpr4
	s_and_saveexec_b64 s[8:9], vcc
	s_xor_b64 s[26:27], exec, s[8:9]
	s_cbranch_execnz .LBB9_4
; %bb.2:
	s_andn2_saveexec_b64 s[8:9], s[26:27]
	s_cbranch_execnz .LBB9_14
.LBB9_3:
	s_or_b64 exec, exec, s[8:9]
	s_and_b64 exec, exec, s[4:5]
	s_cbranch_execnz .LBB9_15
	s_branch .LBB9_17
.LBB9_4:
	s_lshl_b32 s31, s17, 10
	s_sub_i32 s8, 0, s31
	s_cmp_lt_i32 s31, 0
	s_cselect_b64 vcc, -1, 0
	s_and_b64 s[4:5], vcc, exec
	v_lshrrev_b32_e32 v4, 10, v2
	s_cselect_b32 s8, s8, s31
	v_mul_lo_u32 v1, v0, s17
	v_mul_hi_u32 v2, s8, v4
	v_add_u32_e32 v1, s30, v1
	v_cmp_eq_u32_e64 s[4:5], 0, v2
	v_mul_lo_u32 v2, s8, v4
	v_add_u32_e32 v3, v1, v2
	v_sub_u32_e32 v2, v1, v2
	v_cmp_gt_i32_e64 s[8:9], v2, v1
	s_nop 1
	v_cndmask_b32_e64 v2, 0, 1, s[8:9]
	v_cmp_lt_i32_e64 s[8:9], v3, v1
	s_nop 1
	v_cndmask_b32_e64 v1, 0, 1, s[8:9]
	v_cndmask_b32_e32 v1, v1, v2, vcc
	v_and_b32_e32 v1, 1, v1
	v_cmp_eq_u32_e32 vcc, 1, v1
	s_xor_b64 s[28:29], vcc, -1
	s_mov_b64 s[8:9], -1
	s_and_b64 s[28:29], s[28:29], s[4:5]
	v_mov_b32_e32 v1, v0
	s_and_saveexec_b64 s[4:5], s[28:29]
	s_cbranch_execz .LBB9_13
; %bb.5:
	v_add_u32_e32 v2, -1, v4
	v_or_b32_e32 v1, 0x400, v0
	v_lshrrev_b32_e32 v3, 1, v2
	s_mov_b32 s33, 0
	v_add_u32_e32 v5, 1, v3
	v_cmp_lt_u32_e32 vcc, 5, v2
	v_mov_b32_e32 v8, 0
	v_mov_b64_e32 v[2:3], v[0:1]
	s_and_saveexec_b64 s[8:9], vcc
	s_cbranch_execz .LBB9_9
; %bb.6:
	v_and_b32_e32 v6, -4, v5
	v_lshlrev_b32_e32 v7, 2, v0
	s_mov_b64 s[28:29], 0
	v_mov_b64_e32 v[2:3], v[0:1]
.LBB9_7:                                ; =>This Inner Loop Header: Depth=1
	v_mul_lo_u32 v1, v3, s17
	v_mul_lo_u32 v8, v2, s17
	v_add_u32_e32 v9, 0x800, v2
	v_add_u32_e32 v11, 0x800, v3
	;; [unrolled: 1-line block ×8, first 2 shown]
	v_mul_lo_u32 v1, v11, s17
	v_mul_lo_u32 v16, v9, s17
	;; [unrolled: 1-line block ×6, first 2 shown]
	v_ashrrev_i32_e32 v9, 31, v8
	v_add_u32_e32 v12, s30, v16
	v_add_u32_e32 v14, s30, v1
	;; [unrolled: 1-line block ×6, first 2 shown]
	v_ashrrev_i32_e32 v11, 31, v10
	v_lshl_add_u64 v[8:9], v[8:9], 2, s[24:25]
	v_ashrrev_i32_e32 v15, 31, v14
	v_ashrrev_i32_e32 v13, 31, v12
	;; [unrolled: 1-line block ×6, first 2 shown]
	v_lshl_add_u64 v[10:11], v[10:11], 2, s[24:25]
	v_lshl_add_u64 v[12:13], v[12:13], 2, s[24:25]
	;; [unrolled: 1-line block ×7, first 2 shown]
	global_load_dword v1, v[8:9], off
	global_load_dword v24, v[10:11], off
	;; [unrolled: 1-line block ×8, first 2 shown]
	v_add_u32_e32 v6, -4, v6
	s_add_i32 s33, s33, 8
	v_cmp_eq_u32_e32 vcc, 0, v6
	v_add_u32_e32 v3, 0x2000, v3
	v_add_u32_e32 v2, 0x2000, v2
	v_mov_b32_e32 v8, s33
	s_or_b64 s[28:29], vcc, s[28:29]
	s_waitcnt vmcnt(6)
	ds_write2st64_b32 v7, v1, v24 offset1:16
	s_waitcnt vmcnt(4)
	ds_write2st64_b32 v7, v25, v26 offset0:32 offset1:48
	s_waitcnt vmcnt(2)
	ds_write2st64_b32 v7, v27, v28 offset0:64 offset1:80
	;; [unrolled: 2-line block ×3, first 2 shown]
	v_add_u32_e32 v7, 0x8000, v7
	s_andn2_b64 exec, exec, s[28:29]
	s_cbranch_execnz .LBB9_7
; %bb.8:
	s_or_b64 exec, exec, s[28:29]
.LBB9_9:
	s_or_b64 exec, exec, s[8:9]
	v_and_b32_e32 v1, 3, v5
	v_cmp_ne_u32_e32 vcc, 0, v1
	s_and_saveexec_b64 s[8:9], vcc
	s_cbranch_execz .LBB9_12
; %bb.10:
	v_lshlrev_b32_e32 v5, 2, v0
	v_lshl_or_b32 v5, v8, 12, v5
	s_mov_b64 s[28:29], 0
.LBB9_11:                               ; =>This Inner Loop Header: Depth=1
	v_mul_lo_u32 v6, v2, s17
	v_mul_lo_u32 v7, v3, s17
	v_add_u32_e32 v6, s30, v6
	v_add_u32_e32 v8, s30, v7
	v_ashrrev_i32_e32 v7, 31, v6
	v_ashrrev_i32_e32 v9, 31, v8
	v_lshl_add_u64 v[6:7], v[6:7], 2, s[24:25]
	v_lshl_add_u64 v[8:9], v[8:9], 2, s[24:25]
	global_load_dword v10, v[6:7], off
	global_load_dword v11, v[8:9], off
	v_add_u32_e32 v1, -1, v1
	v_cmp_eq_u32_e32 vcc, 0, v1
	v_add_u32_e32 v3, 0x800, v3
	v_add_u32_e32 v2, 0x800, v2
	s_or_b64 s[28:29], vcc, s[28:29]
	s_waitcnt vmcnt(0)
	ds_write2st64_b32 v5, v10, v11 offset1:16
	v_add_u32_e32 v5, 0x2000, v5
	s_andn2_b64 exec, exec, s[28:29]
	s_cbranch_execnz .LBB9_11
.LBB9_12:
	s_or_b64 exec, exec, s[8:9]
	v_add_u32_e32 v2, 1, v4
	v_and_b32_e32 v3, 0x7ffffe, v2
	v_cmp_ne_u32_e32 vcc, v2, v3
	v_lshl_or_b32 v1, v3, 10, v0
	s_orn2_b64 s[8:9], vcc, exec
.LBB9_13:
	s_or_b64 exec, exec, s[4:5]
	v_mov_b32_e32 v4, s31
	s_and_b64 s[4:5], s[8:9], exec
	s_andn2_saveexec_b64 s[8:9], s[26:27]
	s_cbranch_execz .LBB9_3
.LBB9_14:
	s_lshl_b32 s26, s17, 10
	v_mov_b32_e32 v4, s26
	s_or_b64 s[4:5], s[4:5], exec
	v_mov_b32_e32 v1, v0
	s_or_b64 exec, exec, s[8:9]
	s_and_b64 exec, exec, s[4:5]
	s_cbranch_execz .LBB9_17
.LBB9_15:
	v_mul_lo_u32 v2, v1, s17
	v_add_u32_e32 v2, s30, v2
	v_lshlrev_b32_e32 v5, 2, v1
	s_mov_b64 s[4:5], 0
.LBB9_16:                               ; =>This Inner Loop Header: Depth=1
	v_ashrrev_i32_e32 v3, 31, v2
	v_lshl_add_u64 v[6:7], v[2:3], 2, s[24:25]
	global_load_dword v3, v[6:7], off
	v_add_u32_e32 v1, 0x400, v1
	v_cmp_le_i32_e32 vcc, s19, v1
	v_add_u32_e32 v2, v2, v4
	s_or_b64 s[4:5], vcc, s[4:5]
	s_waitcnt vmcnt(0)
	ds_write_b32 v5, v3
	v_add_u32_e32 v5, 0x1000, v5
	s_andn2_b64 exec, exec, s[4:5]
	s_cbranch_execnz .LBB9_16
.LBB9_17:
	s_or_b64 exec, exec, s[22:23]
	s_cmp_ge_i32 s16, s18
	s_waitcnt lgkmcnt(0)
	s_barrier
	s_cbranch_scc1 .LBB9_37
; %bb.18:
	s_load_dwordx2 s[4:5], s[0:1], 0x50
	s_load_dword s17, s[0:1], 0x48
	v_mbcnt_lo_u32_b32 v2, -1, 0
	v_and_b32_e32 v1, 63, v0
	v_mbcnt_hi_u32_b32 v14, -1, v2
	s_waitcnt lgkmcnt(0)
	s_mul_i32 s1, s4, s3
	s_mul_hi_u32 s8, s4, s2
	s_mul_i32 s5, s5, s2
	s_add_i32 s1, s8, s1
	s_mul_i32 s0, s4, s2
	s_add_i32 s1, s1, s5
	s_lshl_b64 s[0:1], s[0:1], 2
	s_add_u32 s4, s14, s0
	s_addc_u32 s5, s15, s1
	s_lshl_b64 s[0:1], s[20:21], 2
	s_add_u32 s22, s4, s0
	s_addc_u32 s23, s5, s1
	s_mul_i32 s0, s12, s3
	s_mul_hi_u32 s1, s12, s2
	s_add_i32 s0, s1, s0
	s_mul_i32 s1, s13, s2
	s_add_i32 s1, s0, s1
	s_mul_i32 s0, s12, s2
	s_lshl_b64 s[0:1], s[0:1], 2
	s_add_u32 s2, s10, s0
	s_addc_u32 s3, s11, s1
	s_cmp_gt_i32 s19, 1
	v_mov_b32_e32 v2, 0x80
	s_cselect_b64 s[8:9], -1, 0
	v_cmp_eq_u32_e64 s[0:1], 0, v1
	v_lshrrev_b32_e32 v1, 4, v0
	v_cmp_eq_u32_e64 s[4:5], 0, v0
	v_lshlrev_b32_e32 v4, 2, v0
	v_mul_lo_u32 v5, v0, s17
	s_lshl_b32 s24, s17, 10
	v_mov_b32_e32 v6, 0x2004
	v_mov_b32_e32 v7, 0x200c
	;; [unrolled: 1-line block ×8, first 2 shown]
	v_and_b32_e32 v15, 63, v14
	v_lshl_or_b32 v16, v14, 2, v2
	s_branch .LBB9_20
.LBB9_19:                               ;   in Loop: Header=BB9_20 Depth=1
	s_or_b64 exec, exec, s[12:13]
	s_add_i32 s16, s16, 64
	s_cmp_ge_i32 s16, s18
	s_cbranch_scc1 .LBB9_37
.LBB9_20:                               ; =>This Loop Header: Depth=1
                                        ;     Child Loop BB9_22 Depth 2
                                        ;     Child Loop BB9_36 Depth 2
	s_ashr_i32 s17, s16, 31
	s_lshl_b64 s[10:11], s[16:17], 2
	s_add_u32 s10, s22, s10
	s_addc_u32 s11, s23, s11
	v_mov_b32_e32 v17, 0
	s_and_saveexec_b64 s[12:13], s[6:7]
	s_cbranch_execz .LBB9_24
; %bb.21:                               ;   in Loop: Header=BB9_20 Depth=1
	v_mov_b32_e32 v17, 0
	s_mov_b64 s[14:15], 0
	v_mov_b32_e32 v2, v5
	v_mov_b32_e32 v18, v4
	;; [unrolled: 1-line block ×3, first 2 shown]
.LBB9_22:                               ;   Parent Loop BB9_20 Depth=1
                                        ; =>  This Inner Loop Header: Depth=2
	v_ashrrev_i32_e32 v3, 31, v2
	v_lshl_add_u64 v[20:21], v[2:3], 2, s[10:11]
	global_load_dword v3, v[20:21], off
	ds_read_b32 v20, v18
	v_add_u32_e32 v19, 0x400, v19
	v_cmp_le_i32_e32 vcc, s19, v19
	v_add_u32_e32 v18, 0x1000, v18
	v_add_u32_e32 v2, s24, v2
	s_or_b64 s[14:15], vcc, s[14:15]
	s_waitcnt vmcnt(0) lgkmcnt(0)
	v_fmac_f32_e32 v17, v20, v3
	s_andn2_b64 exec, exec, s[14:15]
	s_cbranch_execnz .LBB9_22
; %bb.23:                               ;   in Loop: Header=BB9_20 Depth=1
	s_or_b64 exec, exec, s[14:15]
.LBB9_24:                               ;   in Loop: Header=BB9_20 Depth=1
	s_or_b64 exec, exec, s[12:13]
	s_and_b64 vcc, exec, s[8:9]
	s_cbranch_vccz .LBB9_31
; %bb.25:                               ;   in Loop: Header=BB9_20 Depth=1
	v_cmp_ne_u32_e32 vcc, 63, v15
	s_nop 1
	v_addc_co_u32_e32 v2, vcc, 0, v14, vcc
	v_lshlrev_b32_e32 v2, 2, v2
	ds_bpermute_b32 v2, v2, v17
	v_cmp_gt_u32_e32 vcc, 62, v15
	s_waitcnt lgkmcnt(0)
	v_add_f32_e32 v2, v17, v2
	v_cndmask_b32_e64 v3, 0, 2, vcc
	v_add_lshl_u32 v3, v3, v14, 2
	ds_bpermute_b32 v3, v3, v2
	v_cmp_gt_u32_e32 vcc, 60, v15
	s_waitcnt lgkmcnt(0)
	v_add_f32_e32 v2, v2, v3
	v_cndmask_b32_e64 v18, 0, 4, vcc
	v_add_lshl_u32 v18, v18, v14, 2
	;; [unrolled: 6-line block ×4, first 2 shown]
	ds_bpermute_b32 v3, v3, v2
	s_waitcnt lgkmcnt(0)
	v_add_f32_e32 v2, v2, v3
	ds_bpermute_b32 v3, v16, v2
	s_waitcnt lgkmcnt(0)
	v_add_f32_e32 v2, v2, v3
	s_and_saveexec_b64 s[12:13], s[0:1]
; %bb.26:                               ;   in Loop: Header=BB9_20 Depth=1
	ds_write_b32 v1, v2 offset:8192
; %bb.27:                               ;   in Loop: Header=BB9_20 Depth=1
	s_or_b64 exec, exec, s[12:13]
	s_mov_b64 s[14:15], 0
	s_mov_b64 s[12:13], 0
	s_waitcnt lgkmcnt(0)
	s_barrier
                                        ; implicit-def: $vgpr3
	s_and_saveexec_b64 s[20:21], s[4:5]
	s_xor_b64 s[20:21], exec, s[20:21]
	s_cbranch_execz .LBB9_29
; %bb.28:                               ;   in Loop: Header=BB9_20 Depth=1
	ds_read2_b32 v[18:19], v6 offset1:1
	ds_read2_b32 v[20:21], v7 offset1:1
	;; [unrolled: 1-line block ×4, first 2 shown]
	s_mov_b64 s[12:13], exec
	s_waitcnt lgkmcnt(3)
	v_add_f32_e32 v2, v2, v18
	v_add_f32_e32 v2, v2, v19
	s_waitcnt lgkmcnt(2)
	v_add_f32_e32 v2, v2, v20
	v_add_f32_e32 v2, v2, v21
	;; [unrolled: 3-line block ×3, first 2 shown]
	s_waitcnt lgkmcnt(0)
	v_add_f32_e32 v18, v2, v24
	ds_read2_b32 v[2:3], v10 offset1:1
	v_add_f32_e32 v22, v18, v25
	ds_read2_b32 v[18:19], v11 offset1:1
	ds_read2_b32 v[20:21], v12 offset1:1
	ds_read_b32 v23, v13 offset:8252
	s_waitcnt lgkmcnt(3)
	v_add_f32_e32 v2, v22, v2
	v_add_f32_e32 v2, v2, v3
	s_waitcnt lgkmcnt(2)
	v_add_f32_e32 v2, v2, v18
	v_add_f32_e32 v2, v2, v19
	;; [unrolled: 3-line block ×3, first 2 shown]
	s_waitcnt lgkmcnt(0)
	v_add_f32_e32 v3, v2, v23
.LBB9_29:                               ;   in Loop: Header=BB9_20 Depth=1
	s_or_b64 exec, exec, s[20:21]
	s_and_b64 vcc, exec, s[14:15]
	s_cbranch_vccnz .LBB9_32
.LBB9_30:                               ;   in Loop: Header=BB9_20 Depth=1
	v_mov_b32_e32 v17, v3
	s_and_saveexec_b64 s[14:15], s[12:13]
	s_cbranch_execnz .LBB9_33
	s_branch .LBB9_34
.LBB9_31:                               ;   in Loop: Header=BB9_20 Depth=1
	s_mov_b64 s[12:13], 0
                                        ; implicit-def: $vgpr3
	s_cbranch_execz .LBB9_30
.LBB9_32:                               ;   in Loop: Header=BB9_20 Depth=1
	s_andn2_b64 s[12:13], s[12:13], exec
	s_and_b64 s[14:15], s[4:5], exec
	s_or_b64 s[12:13], s[12:13], s[14:15]
	s_and_saveexec_b64 s[14:15], s[12:13]
.LBB9_33:                               ;   in Loop: Header=BB9_20 Depth=1
	ds_write_b32 v13, v17 offset:8192
.LBB9_34:                               ;   in Loop: Header=BB9_20 Depth=1
	s_or_b64 exec, exec, s[14:15]
	s_waitcnt lgkmcnt(0)
	s_barrier
	s_and_saveexec_b64 s[12:13], s[6:7]
	s_cbranch_execz .LBB9_19
; %bb.35:                               ;   in Loop: Header=BB9_20 Depth=1
	global_load_dword v3, v13, s[2:3]
	ds_read_b32 v18, v13 offset:8192
	s_mov_b64 s[14:15], 0
	v_mov_b32_e32 v17, v4
	v_mov_b32_e32 v2, v5
	;; [unrolled: 1-line block ×3, first 2 shown]
	s_waitcnt vmcnt(0) lgkmcnt(0)
	v_mul_f32_e64 v18, v18, -v3
.LBB9_36:                               ;   Parent Loop BB9_20 Depth=1
                                        ; =>  This Inner Loop Header: Depth=2
	v_ashrrev_i32_e32 v3, 31, v2
	v_lshl_add_u64 v[20:21], v[2:3], 2, s[10:11]
	global_load_dword v3, v[20:21], off
	ds_read_b32 v22, v17
	v_add_u32_e32 v19, 0x400, v19
	v_cmp_le_i32_e32 vcc, s19, v19
	v_add_u32_e32 v17, 0x1000, v17
	v_add_u32_e32 v2, s24, v2
	s_or_b64 s[14:15], vcc, s[14:15]
	s_waitcnt vmcnt(0) lgkmcnt(0)
	v_fmac_f32_e32 v3, v18, v22
	global_store_dword v[20:21], v3, off
	s_andn2_b64 exec, exec, s[14:15]
	s_cbranch_execnz .LBB9_36
	s_branch .LBB9_19
.LBB9_37:
	s_endpgm
	.section	.rodata,"a",@progbits
	.p2align	6, 0x0
	.amdhsa_kernel _ZN9rocsolver6v33100L23larf_right_kernel_smallILi1024EfiPfEEvT1_S3_T2_lS3_lPKT0_lS4_lS3_l
		.amdhsa_group_segment_fixed_size 8256
		.amdhsa_private_segment_fixed_size 0
		.amdhsa_kernarg_size 88
		.amdhsa_user_sgpr_count 2
		.amdhsa_user_sgpr_dispatch_ptr 0
		.amdhsa_user_sgpr_queue_ptr 0
		.amdhsa_user_sgpr_kernarg_segment_ptr 1
		.amdhsa_user_sgpr_dispatch_id 0
		.amdhsa_user_sgpr_kernarg_preload_length 0
		.amdhsa_user_sgpr_kernarg_preload_offset 0
		.amdhsa_user_sgpr_private_segment_size 0
		.amdhsa_uses_dynamic_stack 0
		.amdhsa_enable_private_segment 0
		.amdhsa_system_sgpr_workgroup_id_x 1
		.amdhsa_system_sgpr_workgroup_id_y 1
		.amdhsa_system_sgpr_workgroup_id_z 0
		.amdhsa_system_sgpr_workgroup_info 0
		.amdhsa_system_vgpr_workitem_id 0
		.amdhsa_next_free_vgpr 31
		.amdhsa_next_free_sgpr 34
		.amdhsa_accum_offset 32
		.amdhsa_reserve_vcc 1
		.amdhsa_float_round_mode_32 0
		.amdhsa_float_round_mode_16_64 0
		.amdhsa_float_denorm_mode_32 3
		.amdhsa_float_denorm_mode_16_64 3
		.amdhsa_dx10_clamp 1
		.amdhsa_ieee_mode 1
		.amdhsa_fp16_overflow 0
		.amdhsa_tg_split 0
		.amdhsa_exception_fp_ieee_invalid_op 0
		.amdhsa_exception_fp_denorm_src 0
		.amdhsa_exception_fp_ieee_div_zero 0
		.amdhsa_exception_fp_ieee_overflow 0
		.amdhsa_exception_fp_ieee_underflow 0
		.amdhsa_exception_fp_ieee_inexact 0
		.amdhsa_exception_int_div_zero 0
	.end_amdhsa_kernel
	.section	.text._ZN9rocsolver6v33100L23larf_right_kernel_smallILi1024EfiPfEEvT1_S3_T2_lS3_lPKT0_lS4_lS3_l,"axG",@progbits,_ZN9rocsolver6v33100L23larf_right_kernel_smallILi1024EfiPfEEvT1_S3_T2_lS3_lPKT0_lS4_lS3_l,comdat
.Lfunc_end9:
	.size	_ZN9rocsolver6v33100L23larf_right_kernel_smallILi1024EfiPfEEvT1_S3_T2_lS3_lPKT0_lS4_lS3_l, .Lfunc_end9-_ZN9rocsolver6v33100L23larf_right_kernel_smallILi1024EfiPfEEvT1_S3_T2_lS3_lPKT0_lS4_lS3_l
                                        ; -- End function
	.set _ZN9rocsolver6v33100L23larf_right_kernel_smallILi1024EfiPfEEvT1_S3_T2_lS3_lPKT0_lS4_lS3_l.num_vgpr, 31
	.set _ZN9rocsolver6v33100L23larf_right_kernel_smallILi1024EfiPfEEvT1_S3_T2_lS3_lPKT0_lS4_lS3_l.num_agpr, 0
	.set _ZN9rocsolver6v33100L23larf_right_kernel_smallILi1024EfiPfEEvT1_S3_T2_lS3_lPKT0_lS4_lS3_l.numbered_sgpr, 34
	.set _ZN9rocsolver6v33100L23larf_right_kernel_smallILi1024EfiPfEEvT1_S3_T2_lS3_lPKT0_lS4_lS3_l.num_named_barrier, 0
	.set _ZN9rocsolver6v33100L23larf_right_kernel_smallILi1024EfiPfEEvT1_S3_T2_lS3_lPKT0_lS4_lS3_l.private_seg_size, 0
	.set _ZN9rocsolver6v33100L23larf_right_kernel_smallILi1024EfiPfEEvT1_S3_T2_lS3_lPKT0_lS4_lS3_l.uses_vcc, 1
	.set _ZN9rocsolver6v33100L23larf_right_kernel_smallILi1024EfiPfEEvT1_S3_T2_lS3_lPKT0_lS4_lS3_l.uses_flat_scratch, 0
	.set _ZN9rocsolver6v33100L23larf_right_kernel_smallILi1024EfiPfEEvT1_S3_T2_lS3_lPKT0_lS4_lS3_l.has_dyn_sized_stack, 0
	.set _ZN9rocsolver6v33100L23larf_right_kernel_smallILi1024EfiPfEEvT1_S3_T2_lS3_lPKT0_lS4_lS3_l.has_recursion, 0
	.set _ZN9rocsolver6v33100L23larf_right_kernel_smallILi1024EfiPfEEvT1_S3_T2_lS3_lPKT0_lS4_lS3_l.has_indirect_call, 0
	.section	.AMDGPU.csdata,"",@progbits
; Kernel info:
; codeLenInByte = 2164
; TotalNumSgprs: 40
; NumVgprs: 31
; NumAgprs: 0
; TotalNumVgprs: 31
; ScratchSize: 0
; MemoryBound: 0
; FloatMode: 240
; IeeeMode: 1
; LDSByteSize: 8256 bytes/workgroup (compile time only)
; SGPRBlocks: 4
; VGPRBlocks: 3
; NumSGPRsForWavesPerEU: 40
; NumVGPRsForWavesPerEU: 31
; AccumOffset: 32
; Occupancy: 8
; WaveLimiterHint : 0
; COMPUTE_PGM_RSRC2:SCRATCH_EN: 0
; COMPUTE_PGM_RSRC2:USER_SGPR: 2
; COMPUTE_PGM_RSRC2:TRAP_HANDLER: 0
; COMPUTE_PGM_RSRC2:TGID_X_EN: 1
; COMPUTE_PGM_RSRC2:TGID_Y_EN: 1
; COMPUTE_PGM_RSRC2:TGID_Z_EN: 0
; COMPUTE_PGM_RSRC2:TIDIG_COMP_CNT: 0
; COMPUTE_PGM_RSRC3_GFX90A:ACCUM_OFFSET: 7
; COMPUTE_PGM_RSRC3_GFX90A:TG_SPLIT: 0
	.section	.text._ZN9rocsolver6v33100L22larf_left_kernel_smallILi64EfiPKPfEEvT1_S5_T2_lS5_lPKT0_lS6_lS5_l,"axG",@progbits,_ZN9rocsolver6v33100L22larf_left_kernel_smallILi64EfiPKPfEEvT1_S5_T2_lS5_lPKT0_lS6_lS5_l,comdat
	.globl	_ZN9rocsolver6v33100L22larf_left_kernel_smallILi64EfiPKPfEEvT1_S5_T2_lS5_lPKT0_lS6_lS5_l ; -- Begin function _ZN9rocsolver6v33100L22larf_left_kernel_smallILi64EfiPKPfEEvT1_S5_T2_lS5_lPKT0_lS6_lS5_l
	.p2align	8
	.type	_ZN9rocsolver6v33100L22larf_left_kernel_smallILi64EfiPKPfEEvT1_S5_T2_lS5_lPKT0_lS6_lS5_l,@function
_ZN9rocsolver6v33100L22larf_left_kernel_smallILi64EfiPKPfEEvT1_S5_T2_lS5_lPKT0_lS6_lS5_l: ; @_ZN9rocsolver6v33100L22larf_left_kernel_smallILi64EfiPKPfEEvT1_S5_T2_lS5_lPKT0_lS6_lS5_l
; %bb.0:
	s_load_dwordx8 s[20:27], s[0:1], 0x28
	s_load_dwordx2 s[18:19], s[0:1], 0x0
	s_mov_b32 s16, s3
	s_ashr_i32 s3, s2, 31
	s_lshl_b64 s[4:5], s[2:3], 3
	s_waitcnt lgkmcnt(0)
	s_add_u32 s6, s24, s4
	s_addc_u32 s7, s25, s5
	s_load_dwordx2 s[8:9], s[6:7], 0x0
	v_cmp_gt_i32_e64 s[14:15], s18, v0
	v_xad_u32 v4, v0, -1, s18
	s_and_saveexec_b64 s[10:11], s[14:15]
	s_cbranch_execz .LBB10_17
; %bb.1:
	s_load_dwordx4 s[28:31], s[0:1], 0x8
	s_load_dword s17, s[0:1], 0x18
	s_movk_i32 s6, 0x5bf
	v_cmp_lt_u32_e32 vcc, s6, v4
                                        ; implicit-def: $vgpr1
                                        ; implicit-def: $vgpr5
	s_waitcnt lgkmcnt(0)
	s_add_u32 s4, s28, s4
	s_addc_u32 s5, s29, s5
	s_load_dwordx2 s[4:5], s[4:5], 0x0
	s_lshl_b64 s[6:7], s[30:31], 2
	s_waitcnt lgkmcnt(0)
	s_add_u32 s12, s4, s6
	s_addc_u32 s13, s5, s7
	s_sub_i32 s4, 1, s18
	s_mul_i32 s4, s17, s4
	s_cmp_lt_i32 s17, 1
	s_cselect_b32 s30, s4, 0
	s_mov_b64 s[4:5], 0
	s_and_saveexec_b64 s[6:7], vcc
	s_xor_b64 s[24:25], exec, s[6:7]
	s_cbranch_execnz .LBB10_4
; %bb.2:
	s_andn2_saveexec_b64 s[6:7], s[24:25]
	s_cbranch_execnz .LBB10_14
.LBB10_3:
	s_or_b64 exec, exec, s[6:7]
	s_and_b64 exec, exec, s[4:5]
	s_cbranch_execnz .LBB10_15
	s_branch .LBB10_17
.LBB10_4:
	s_lshl_b32 s31, s17, 6
	s_sub_i32 s6, 0, s31
	s_cmp_lt_i32 s31, 0
	s_cselect_b64 vcc, -1, 0
	s_and_b64 s[4:5], vcc, exec
	v_lshrrev_b32_e32 v5, 6, v4
	s_cselect_b32 s6, s6, s31
	v_mul_lo_u32 v1, v0, s17
	v_mul_hi_u32 v2, s6, v5
	v_add_u32_e32 v1, s30, v1
	v_cmp_eq_u32_e64 s[4:5], 0, v2
	v_mul_lo_u32 v2, s6, v5
	v_add_u32_e32 v3, v1, v2
	v_sub_u32_e32 v2, v1, v2
	v_cmp_gt_i32_e64 s[6:7], v2, v1
	s_nop 1
	v_cndmask_b32_e64 v2, 0, 1, s[6:7]
	v_cmp_lt_i32_e64 s[6:7], v3, v1
	s_nop 1
	v_cndmask_b32_e64 v1, 0, 1, s[6:7]
	v_cndmask_b32_e32 v1, v1, v2, vcc
	v_and_b32_e32 v1, 1, v1
	v_cmp_eq_u32_e32 vcc, 1, v1
	s_xor_b64 s[28:29], vcc, -1
	s_mov_b64 s[6:7], -1
	s_and_b64 s[28:29], s[28:29], s[4:5]
	v_mov_b32_e32 v1, v0
	s_and_saveexec_b64 s[4:5], s[28:29]
	s_cbranch_execz .LBB10_13
; %bb.5:
	v_add_u32_e32 v2, -1, v5
	v_or_b32_e32 v1, 64, v0
	v_lshrrev_b32_e32 v3, 1, v2
	s_mov_b32 s33, 0
	v_add_u32_e32 v6, 1, v3
	v_cmp_lt_u32_e32 vcc, 5, v2
	v_mov_b32_e32 v9, 0
	v_mov_b64_e32 v[2:3], v[0:1]
	s_and_saveexec_b64 s[6:7], vcc
	s_cbranch_execz .LBB10_9
; %bb.6:
	v_and_b32_e32 v7, -4, v6
	v_lshlrev_b32_e32 v8, 2, v0
	s_mov_b64 s[28:29], 0
	v_mov_b64_e32 v[2:3], v[0:1]
.LBB10_7:                               ; =>This Inner Loop Header: Depth=1
	v_mul_lo_u32 v9, v2, s17
	v_mul_lo_u32 v1, v3, s17
	v_add_u32_e32 v10, s30, v9
	v_add_u32_e32 v12, s30, v1
	v_ashrrev_i32_e32 v11, 31, v10
	v_ashrrev_i32_e32 v13, 31, v12
	v_lshl_add_u64 v[10:11], v[10:11], 2, s[12:13]
	v_lshl_add_u64 v[12:13], v[12:13], 2, s[12:13]
	flat_load_dword v1, v[10:11]
	flat_load_dword v9, v[12:13]
	v_add_u32_e32 v10, 0x80, v2
	v_add_u32_e32 v11, 0x80, v3
	v_mul_lo_u32 v10, v10, s17
	v_mul_lo_u32 v11, v11, s17
	v_add_u32_e32 v10, s30, v10
	v_add_u32_e32 v12, s30, v11
	v_ashrrev_i32_e32 v11, 31, v10
	v_ashrrev_i32_e32 v13, 31, v12
	v_lshl_add_u64 v[10:11], v[10:11], 2, s[12:13]
	v_lshl_add_u64 v[12:13], v[12:13], 2, s[12:13]
	v_add_u32_e32 v7, -4, v7
	s_add_i32 s33, s33, 8
	v_cmp_eq_u32_e32 vcc, 0, v7
	s_or_b64 s[28:29], vcc, s[28:29]
	s_waitcnt vmcnt(0) lgkmcnt(0)
	ds_write2st64_b32 v8, v1, v9 offset1:1
	flat_load_dword v1, v[10:11]
	flat_load_dword v9, v[12:13]
	v_add_u32_e32 v10, 0x100, v2
	v_add_u32_e32 v11, 0x100, v3
	v_mul_lo_u32 v10, v10, s17
	v_mul_lo_u32 v11, v11, s17
	v_add_u32_e32 v10, s30, v10
	v_add_u32_e32 v12, s30, v11
	v_ashrrev_i32_e32 v11, 31, v10
	v_ashrrev_i32_e32 v13, 31, v12
	v_lshl_add_u64 v[10:11], v[10:11], 2, s[12:13]
	v_lshl_add_u64 v[12:13], v[12:13], 2, s[12:13]
	s_waitcnt vmcnt(0) lgkmcnt(0)
	ds_write2st64_b32 v8, v1, v9 offset0:2 offset1:3
	flat_load_dword v1, v[10:11]
	flat_load_dword v9, v[12:13]
	v_add_u32_e32 v10, 0x180, v2
	v_add_u32_e32 v11, 0x180, v3
	v_mul_lo_u32 v10, v10, s17
	v_mul_lo_u32 v11, v11, s17
	v_add_u32_e32 v10, s30, v10
	v_add_u32_e32 v12, s30, v11
	v_ashrrev_i32_e32 v11, 31, v10
	v_ashrrev_i32_e32 v13, 31, v12
	v_lshl_add_u64 v[10:11], v[10:11], 2, s[12:13]
	v_lshl_add_u64 v[12:13], v[12:13], 2, s[12:13]
	v_add_u32_e32 v3, 0x200, v3
	v_add_u32_e32 v2, 0x200, v2
	s_waitcnt vmcnt(0) lgkmcnt(0)
	ds_write2st64_b32 v8, v1, v9 offset0:4 offset1:5
	flat_load_dword v1, v[10:11]
	flat_load_dword v14, v[12:13]
	v_mov_b32_e32 v9, s33
	s_waitcnt vmcnt(0) lgkmcnt(0)
	ds_write2st64_b32 v8, v1, v14 offset0:6 offset1:7
	v_add_u32_e32 v8, 0x800, v8
	s_andn2_b64 exec, exec, s[28:29]
	s_cbranch_execnz .LBB10_7
; %bb.8:
	s_or_b64 exec, exec, s[28:29]
.LBB10_9:
	s_or_b64 exec, exec, s[6:7]
	v_and_b32_e32 v1, 3, v6
	v_cmp_ne_u32_e32 vcc, 0, v1
	s_and_saveexec_b64 s[6:7], vcc
	s_cbranch_execz .LBB10_12
; %bb.10:
	v_lshlrev_b32_e32 v6, 2, v0
	v_lshl_or_b32 v6, v9, 8, v6
	s_mov_b64 s[28:29], 0
.LBB10_11:                              ; =>This Inner Loop Header: Depth=1
	v_mul_lo_u32 v8, v2, s17
	v_mul_lo_u32 v7, v3, s17
	v_add_u32_e32 v8, s30, v8
	v_add_u32_e32 v10, s30, v7
	v_ashrrev_i32_e32 v9, 31, v8
	v_ashrrev_i32_e32 v11, 31, v10
	v_lshl_add_u64 v[8:9], v[8:9], 2, s[12:13]
	v_lshl_add_u64 v[10:11], v[10:11], 2, s[12:13]
	flat_load_dword v7, v[8:9]
	flat_load_dword v12, v[10:11]
	v_add_u32_e32 v1, -1, v1
	v_cmp_eq_u32_e32 vcc, 0, v1
	v_add_u32_e32 v3, 0x80, v3
	v_add_u32_e32 v2, 0x80, v2
	s_or_b64 s[28:29], vcc, s[28:29]
	s_waitcnt vmcnt(0) lgkmcnt(0)
	ds_write2st64_b32 v6, v7, v12 offset1:1
	v_add_u32_e32 v6, 0x200, v6
	s_andn2_b64 exec, exec, s[28:29]
	s_cbranch_execnz .LBB10_11
.LBB10_12:
	s_or_b64 exec, exec, s[6:7]
	v_add_u32_e32 v2, 1, v5
	v_and_b32_e32 v3, 0x7fffffe, v2
	v_cmp_ne_u32_e32 vcc, v2, v3
	v_lshl_or_b32 v1, v3, 6, v0
	s_orn2_b64 s[6:7], vcc, exec
.LBB10_13:
	s_or_b64 exec, exec, s[4:5]
	v_mov_b32_e32 v5, s31
	s_and_b64 s[4:5], s[6:7], exec
	s_andn2_saveexec_b64 s[6:7], s[24:25]
	s_cbranch_execz .LBB10_3
.LBB10_14:
	s_lshl_b32 s24, s17, 6
	v_mov_b32_e32 v5, s24
	s_or_b64 s[4:5], s[4:5], exec
	v_mov_b32_e32 v1, v0
	s_or_b64 exec, exec, s[6:7]
	s_and_b64 exec, exec, s[4:5]
	s_cbranch_execz .LBB10_17
.LBB10_15:
	v_mul_lo_u32 v2, v1, s17
	v_add_u32_e32 v2, s30, v2
	v_lshlrev_b32_e32 v6, 2, v1
	s_mov_b64 s[4:5], 0
.LBB10_16:                              ; =>This Inner Loop Header: Depth=1
	v_ashrrev_i32_e32 v3, 31, v2
	v_lshl_add_u64 v[8:9], v[2:3], 2, s[12:13]
	flat_load_dword v3, v[8:9]
	v_add_u32_e32 v1, 64, v1
	v_cmp_le_i32_e32 vcc, s18, v1
	v_add_u32_e32 v2, v2, v5
	s_or_b64 s[4:5], vcc, s[4:5]
	s_waitcnt vmcnt(0) lgkmcnt(0)
	ds_write_b32 v6, v3
	v_add_u32_e32 v6, 0x100, v6
	s_andn2_b64 exec, exec, s[4:5]
	s_cbranch_execnz .LBB10_16
.LBB10_17:
	s_or_b64 exec, exec, s[10:11]
	s_cmp_ge_i32 s16, s19
	s_waitcnt lgkmcnt(0)
	; wave barrier
	s_cbranch_scc1 .LBB10_53
; %bb.18:
	s_load_dword s17, s[0:1], 0x48
	s_lshl_b64 s[0:1], s[26:27], 2
	s_add_u32 s0, s8, s0
	s_mul_i32 s3, s22, s3
	s_mul_hi_u32 s4, s22, s2
	s_addc_u32 s1, s9, s1
	s_add_i32 s3, s4, s3
	s_mul_i32 s4, s23, s2
	v_lshrrev_b32_e32 v1, 6, v4
	s_add_i32 s3, s3, s4
	s_mul_i32 s2, s22, s2
	v_add_u32_e32 v3, -1, v1
	s_lshl_b64 s[2:3], s[2:3], 2
	v_add_u32_e32 v2, 1, v1
	v_lshrrev_b32_e32 v1, 1, v3
	s_movk_i32 s4, 0x1bf
	s_add_u32 s20, s20, s2
	v_add_u32_e32 v5, 1, v1
	v_cmp_lt_u32_e64 s[4:5], s4, v4
	v_cmp_lt_u32_e64 s[6:7], 63, v4
	v_and_b32_e32 v4, 0x7fffffe, v2
	s_addc_u32 s21, s21, s3
	v_lshl_or_b32 v15, v4, 6, v0
	v_and_b32_e32 v16, 3, v5
	v_and_b32_e32 v17, -4, v5
	v_cmp_ne_u32_e64 s[12:13], v2, v4
	v_mov_b32_e32 v5, 0
	v_mbcnt_lo_u32_b32 v4, -1, 0
	s_cmp_gt_i32 s18, 1
	v_and_b32_e32 v8, 7, v2
	v_cmp_lt_u32_e64 s[8:9], 5, v3
	v_lshlrev_b32_e32 v2, 2, v0
	v_mov_b32_e32 v3, v5
	v_mbcnt_hi_u32_b32 v18, -1, v4
	v_mov_b32_e32 v4, 0x80
	s_cselect_b64 s[22:23], -1, 0
	v_cmp_eq_u32_e64 s[24:25], 0, v0
	v_lshrrev_b32_e32 v14, 4, v0
	v_cmp_ne_u32_e64 s[2:3], 0, v8
	v_or_b32_e32 v1, 64, v0
	v_cmp_ne_u32_e64 s[10:11], 0, v16
	v_lshl_add_u64 v[6:7], s[0:1], 0, v[2:3]
	s_waitcnt lgkmcnt(0)
	s_mul_i32 s26, s16, s17
	s_lshl_b32 s33, s17, 6
	v_lshlrev_b32_e32 v3, 2, v8
	s_mov_b64 s[28:29], 0x100
	s_mov_b64 s[30:31], 0x800
	v_and_b32_e32 v19, 63, v18
	v_lshl_or_b32 v20, v18, 2, v4
	s_branch .LBB10_20
.LBB10_19:                              ;   in Loop: Header=BB10_20 Depth=1
	s_or_b64 exec, exec, s[36:37]
	s_add_i32 s16, s16, 64
	s_add_i32 s26, s26, s33
	s_cmp_ge_i32 s16, s19
	s_cbranch_scc1 .LBB10_53
.LBB10_20:                              ; =>This Loop Header: Depth=1
                                        ;     Child Loop BB10_23 Depth 2
                                        ;     Child Loop BB10_27 Depth 2
	;; [unrolled: 1-line block ×5, first 2 shown]
	s_ashr_i32 s27, s26, 31
	s_lshl_b64 s[34:35], s[26:27], 2
	v_mov_b32_e32 v10, 0
	s_and_saveexec_b64 s[36:37], s[14:15]
	s_cbranch_execz .LBB10_30
; %bb.21:                               ;   in Loop: Header=BB10_20 Depth=1
	v_mov_b32_e32 v10, 0
	v_mov_b32_e32 v4, v0
	s_and_saveexec_b64 s[38:39], s[2:3]
	s_cbranch_execz .LBB10_25
; %bb.22:                               ;   in Loop: Header=BB10_20 Depth=1
	v_lshl_add_u64 v[8:9], v[6:7], 0, s[34:35]
	v_mov_b32_e32 v10, 0
	s_mov_b64 s[40:41], 0
	v_mov_b32_e32 v11, v3
	v_mov_b32_e32 v12, v2
	v_mov_b32_e32 v4, v0
.LBB10_23:                              ;   Parent Loop BB10_20 Depth=1
                                        ; =>  This Inner Loop Header: Depth=2
	flat_load_dword v13, v[8:9]
	ds_read_b32 v21, v12
	v_add_u32_e32 v11, -4, v11
	v_cmp_eq_u32_e32 vcc, 0, v11
	v_add_u32_e32 v4, 64, v4
	v_add_u32_e32 v12, 0x100, v12
	v_lshl_add_u64 v[8:9], v[8:9], 0, s[28:29]
	s_or_b64 s[40:41], vcc, s[40:41]
	s_waitcnt vmcnt(0) lgkmcnt(0)
	v_fmac_f32_e32 v10, v21, v13
	s_andn2_b64 exec, exec, s[40:41]
	s_cbranch_execnz .LBB10_23
; %bb.24:                               ;   in Loop: Header=BB10_20 Depth=1
	s_or_b64 exec, exec, s[40:41]
.LBB10_25:                              ;   in Loop: Header=BB10_20 Depth=1
	s_or_b64 exec, exec, s[38:39]
	s_and_saveexec_b64 s[38:39], s[4:5]
	s_cbranch_execz .LBB10_29
; %bb.26:                               ;   in Loop: Header=BB10_20 Depth=1
	s_add_u32 s40, s0, s34
	s_addc_u32 s41, s1, s35
	v_lshlrev_b32_e32 v11, 2, v4
	v_lshl_add_u64 v[8:9], v[4:5], 2, s[40:41]
	s_mov_b64 s[40:41], 0
.LBB10_27:                              ;   Parent Loop BB10_20 Depth=1
                                        ; =>  This Inner Loop Header: Depth=2
	flat_load_dword v21, v[8:9]
	flat_load_dword v28, v[8:9] offset:256
	flat_load_dword v29, v[8:9] offset:512
	;; [unrolled: 1-line block ×7, first 2 shown]
	ds_read2st64_b32 v[12:13], v11 offset1:1
	ds_read2st64_b32 v[22:23], v11 offset0:2 offset1:3
	ds_read2st64_b32 v[24:25], v11 offset0:4 offset1:5
	;; [unrolled: 1-line block ×3, first 2 shown]
	v_add_u32_e32 v4, 0x200, v4
	v_cmp_le_i32_e32 vcc, s18, v4
	v_add_u32_e32 v11, 0x800, v11
	v_lshl_add_u64 v[8:9], v[8:9], 0, s[30:31]
	s_or_b64 s[40:41], vcc, s[40:41]
	s_waitcnt vmcnt(0) lgkmcnt(0)
	v_fmac_f32_e32 v10, v12, v21
	v_fmac_f32_e32 v10, v13, v28
	;; [unrolled: 1-line block ×8, first 2 shown]
	s_andn2_b64 exec, exec, s[40:41]
	s_cbranch_execnz .LBB10_27
; %bb.28:                               ;   in Loop: Header=BB10_20 Depth=1
	s_or_b64 exec, exec, s[40:41]
.LBB10_29:                              ;   in Loop: Header=BB10_20 Depth=1
	s_or_b64 exec, exec, s[38:39]
.LBB10_30:                              ;   in Loop: Header=BB10_20 Depth=1
	s_or_b64 exec, exec, s[36:37]
	s_and_b64 vcc, exec, s[22:23]
	s_cbranch_vccz .LBB10_35
; %bb.31:                               ;   in Loop: Header=BB10_20 Depth=1
	v_cmp_ne_u32_e32 vcc, 63, v19
	s_nop 1
	v_addc_co_u32_e32 v4, vcc, 0, v18, vcc
	v_lshlrev_b32_e32 v4, 2, v4
	ds_bpermute_b32 v4, v4, v10
	v_cmp_gt_u32_e32 vcc, 62, v19
	s_waitcnt lgkmcnt(0)
	v_add_f32_e32 v4, v10, v4
	v_cndmask_b32_e64 v8, 0, 2, vcc
	v_add_lshl_u32 v8, v8, v18, 2
	ds_bpermute_b32 v8, v8, v4
	v_cmp_gt_u32_e32 vcc, 60, v19
	s_waitcnt lgkmcnt(0)
	v_add_f32_e32 v4, v4, v8
	v_cndmask_b32_e64 v9, 0, 4, vcc
	v_add_lshl_u32 v9, v9, v18, 2
	;; [unrolled: 6-line block ×4, first 2 shown]
	ds_bpermute_b32 v8, v8, v4
	s_waitcnt lgkmcnt(0)
	v_add_f32_e32 v4, v4, v8
	ds_bpermute_b32 v8, v20, v4
	s_waitcnt lgkmcnt(0)
	v_add_f32_e32 v4, v4, v8
	s_and_saveexec_b64 s[36:37], s[24:25]
; %bb.32:                               ;   in Loop: Header=BB10_20 Depth=1
	ds_write_b32 v14, v4 offset:8192
; %bb.33:                               ;   in Loop: Header=BB10_20 Depth=1
	s_or_b64 exec, exec, s[36:37]
	s_waitcnt lgkmcnt(0)
	; wave barrier
	s_mov_b64 s[36:37], s[24:25]
.LBB10_34:                              ;   in Loop: Header=BB10_20 Depth=1
	v_mov_b32_e32 v10, v4
	s_and_saveexec_b64 s[38:39], s[36:37]
	s_cbranch_execnz .LBB10_37
	s_branch .LBB10_38
.LBB10_35:                              ;   in Loop: Header=BB10_20 Depth=1
	s_mov_b64 s[36:37], 0
                                        ; implicit-def: $vgpr4
	s_cbranch_execz .LBB10_34
; %bb.36:                               ;   in Loop: Header=BB10_20 Depth=1
	s_andn2_b64 s[36:37], s[36:37], exec
	s_and_b64 s[38:39], s[24:25], exec
	s_or_b64 s[36:37], s[36:37], s[38:39]
	s_and_saveexec_b64 s[38:39], s[36:37]
.LBB10_37:                              ;   in Loop: Header=BB10_20 Depth=1
	ds_write_b32 v5, v10 offset:8192
.LBB10_38:                              ;   in Loop: Header=BB10_20 Depth=1
	s_or_b64 exec, exec, s[38:39]
	s_waitcnt lgkmcnt(0)
	; wave barrier
	s_and_saveexec_b64 s[36:37], s[14:15]
	s_cbranch_execz .LBB10_19
; %bb.39:                               ;   in Loop: Header=BB10_20 Depth=1
	global_load_dword v4, v5, s[20:21]
	ds_read_b32 v8, v5 offset:8192
	s_mov_b64 s[40:41], -1
	v_mov_b32_e32 v10, v0
	s_waitcnt vmcnt(0) lgkmcnt(0)
	v_mul_f32_e64 v8, v8, -v4
	v_mov_b32_e32 v4, v2
	s_and_saveexec_b64 s[38:39], s[6:7]
	s_cbranch_execz .LBB10_50
; %bb.40:                               ;   in Loop: Header=BB10_20 Depth=1
	s_mul_i32 s27, s16, s17
	v_mov_b32_e32 v9, v8
	v_mov_b32_e32 v13, 0
	v_mov_b64_e32 v[10:11], v[0:1]
	s_and_saveexec_b64 s[40:41], s[8:9]
	s_cbranch_execz .LBB10_44
; %bb.41:                               ;   in Loop: Header=BB10_20 Depth=1
	s_add_i32 s44, s27, 0x80
	s_add_i32 s46, s27, 0x100
	;; [unrolled: 1-line block ×3, first 2 shown]
	s_mov_b32 s45, s44
	s_mov_b32 s47, s46
	;; [unrolled: 1-line block ×4, first 2 shown]
	s_mov_b64 s[42:43], 0
	v_mov_b32_e32 v4, v17
	v_mov_b32_e32 v12, v2
	v_mov_b64_e32 v[10:11], v[0:1]
.LBB10_42:                              ;   Parent Loop BB10_20 Depth=1
                                        ; =>  This Inner Loop Header: Depth=2
	v_add_u32_e32 v22, s27, v10
	v_add_u32_e32 v24, s27, v11
	v_ashrrev_i32_e32 v23, 31, v22
	v_ashrrev_i32_e32 v25, 31, v24
	v_lshl_add_u64 v[22:23], v[22:23], 2, s[0:1]
	v_lshl_add_u64 v[24:25], v[24:25], 2, s[0:1]
	flat_load_dword v26, v[22:23]
	flat_load_dword v27, v[24:25]
	ds_read2st64_b32 v[28:29], v12 offset1:1
	v_add_u32_e32 v30, s44, v10
	v_add_u32_e32 v32, s45, v11
	v_ashrrev_i32_e32 v31, 31, v30
	v_ashrrev_i32_e32 v33, 31, v32
	v_lshl_add_u64 v[30:31], v[30:31], 2, s[0:1]
	v_lshl_add_u64 v[32:33], v[32:33], 2, s[0:1]
	v_add_u32_e32 v4, -4, v4
	s_add_i32 s50, s50, 8
	v_cmp_eq_u32_e32 vcc, 0, v4
	v_mov_b32_e32 v13, s50
	s_or_b64 s[42:43], vcc, s[42:43]
	s_waitcnt vmcnt(0) lgkmcnt(0)
	v_pk_fma_f32 v[26:27], v[8:9], v[28:29], v[26:27]
	flat_store_dword v[22:23], v26
	flat_store_dword v[24:25], v27
	flat_load_dword v22, v[30:31]
	s_nop 0
	flat_load_dword v23, v[32:33]
	ds_read2st64_b32 v[28:29], v12 offset0:2 offset1:3
	v_add_u32_e32 v24, s46, v10
	v_add_u32_e32 v26, s47, v11
	v_ashrrev_i32_e32 v25, 31, v24
	v_ashrrev_i32_e32 v27, 31, v26
	v_lshl_add_u64 v[24:25], v[24:25], 2, s[0:1]
	v_lshl_add_u64 v[26:27], v[26:27], 2, s[0:1]
	s_waitcnt vmcnt(0) lgkmcnt(0)
	v_pk_fma_f32 v[22:23], v[8:9], v[28:29], v[22:23]
	flat_store_dword v[30:31], v22
	flat_store_dword v[32:33], v23
	flat_load_dword v22, v[24:25]
	s_nop 0
	flat_load_dword v23, v[26:27]
	ds_read2st64_b32 v[32:33], v12 offset0:4 offset1:5
	v_add_u32_e32 v28, s48, v10
	v_add_u32_e32 v30, s49, v11
	v_ashrrev_i32_e32 v29, 31, v28
	v_ashrrev_i32_e32 v31, 31, v30
	v_lshl_add_u64 v[28:29], v[28:29], 2, s[0:1]
	v_lshl_add_u64 v[30:31], v[30:31], 2, s[0:1]
	v_add_u32_e32 v11, 0x200, v11
	v_add_u32_e32 v10, 0x200, v10
	s_waitcnt vmcnt(0) lgkmcnt(0)
	v_pk_fma_f32 v[22:23], v[8:9], v[32:33], v[22:23]
	flat_store_dword v[24:25], v22
	flat_store_dword v[26:27], v23
	flat_load_dword v22, v[28:29]
	s_nop 0
	flat_load_dword v23, v[30:31]
	ds_read2st64_b32 v[24:25], v12 offset0:6 offset1:7
	v_add_u32_e32 v12, 0x800, v12
	s_waitcnt vmcnt(0) lgkmcnt(0)
	v_pk_fma_f32 v[22:23], v[8:9], v[24:25], v[22:23]
	flat_store_dword v[28:29], v22
	flat_store_dword v[30:31], v23
	s_andn2_b64 exec, exec, s[42:43]
	s_cbranch_execnz .LBB10_42
; %bb.43:                               ;   in Loop: Header=BB10_20 Depth=1
	s_or_b64 exec, exec, s[42:43]
.LBB10_44:                              ;   in Loop: Header=BB10_20 Depth=1
	s_or_b64 exec, exec, s[40:41]
	s_and_saveexec_b64 s[40:41], s[10:11]
	s_cbranch_execz .LBB10_47
; %bb.45:                               ;   in Loop: Header=BB10_20 Depth=1
	v_lshl_or_b32 v4, v13, 8, v2
	s_mov_b64 s[42:43], 0
	v_mov_b32_e32 v12, v16
.LBB10_46:                              ;   Parent Loop BB10_20 Depth=1
                                        ; =>  This Inner Loop Header: Depth=2
	v_add_u32_e32 v22, s27, v10
	v_add_u32_e32 v24, s27, v11
	v_ashrrev_i32_e32 v23, 31, v22
	v_ashrrev_i32_e32 v25, 31, v24
	v_lshl_add_u64 v[22:23], v[22:23], 2, s[0:1]
	v_lshl_add_u64 v[24:25], v[24:25], 2, s[0:1]
	flat_load_dword v26, v[22:23]
	flat_load_dword v27, v[24:25]
	ds_read2st64_b32 v[28:29], v4 offset1:1
	v_add_u32_e32 v12, -1, v12
	v_cmp_eq_u32_e32 vcc, 0, v12
	v_add_u32_e32 v11, 0x80, v11
	v_add_u32_e32 v10, 0x80, v10
	;; [unrolled: 1-line block ×3, first 2 shown]
	s_or_b64 s[42:43], vcc, s[42:43]
	s_waitcnt vmcnt(0) lgkmcnt(0)
	v_pk_fma_f32 v[26:27], v[8:9], v[28:29], v[26:27]
	flat_store_dword v[22:23], v26
	flat_store_dword v[24:25], v27
	s_andn2_b64 exec, exec, s[42:43]
	s_cbranch_execnz .LBB10_46
.LBB10_47:                              ;   in Loop: Header=BB10_20 Depth=1
	s_or_b64 exec, exec, s[40:41]
	s_mov_b64 s[40:41], 0
                                        ; implicit-def: $vgpr4
	s_and_saveexec_b64 s[42:43], s[12:13]
; %bb.48:                               ;   in Loop: Header=BB10_20 Depth=1
	s_mov_b64 s[40:41], exec
	v_lshlrev_b32_e32 v4, 2, v15
; %bb.49:                               ;   in Loop: Header=BB10_20 Depth=1
	s_or_b64 exec, exec, s[42:43]
	s_orn2_b64 s[40:41], s[40:41], exec
	v_mov_b32_e32 v10, v15
.LBB10_50:                              ;   in Loop: Header=BB10_20 Depth=1
	s_or_b64 exec, exec, s[38:39]
	s_and_b64 exec, exec, s[40:41]
	s_cbranch_execz .LBB10_19
; %bb.51:                               ;   in Loop: Header=BB10_20 Depth=1
	s_add_u32 s34, s0, s34
	v_ashrrev_i32_e32 v11, 31, v10
	s_addc_u32 s35, s1, s35
	v_lshl_add_u64 v[12:13], v[10:11], 2, s[34:35]
	s_mov_b64 s[34:35], 0
.LBB10_52:                              ;   Parent Loop BB10_20 Depth=1
                                        ; =>  This Inner Loop Header: Depth=2
	flat_load_dword v9, v[12:13]
	ds_read_b32 v11, v4
	v_add_u32_e32 v10, 64, v10
	v_cmp_le_i32_e32 vcc, s18, v10
	s_or_b64 s[34:35], vcc, s[34:35]
	v_add_u32_e32 v4, 0x100, v4
	s_waitcnt vmcnt(0) lgkmcnt(0)
	v_fmac_f32_e32 v9, v8, v11
	flat_store_dword v[12:13], v9
	v_lshl_add_u64 v[12:13], v[12:13], 0, s[28:29]
	s_andn2_b64 exec, exec, s[34:35]
	s_cbranch_execnz .LBB10_52
	s_branch .LBB10_19
.LBB10_53:
	s_endpgm
	.section	.rodata,"a",@progbits
	.p2align	6, 0x0
	.amdhsa_kernel _ZN9rocsolver6v33100L22larf_left_kernel_smallILi64EfiPKPfEEvT1_S5_T2_lS5_lPKT0_lS6_lS5_l
		.amdhsa_group_segment_fixed_size 8448
		.amdhsa_private_segment_fixed_size 0
		.amdhsa_kernarg_size 88
		.amdhsa_user_sgpr_count 2
		.amdhsa_user_sgpr_dispatch_ptr 0
		.amdhsa_user_sgpr_queue_ptr 0
		.amdhsa_user_sgpr_kernarg_segment_ptr 1
		.amdhsa_user_sgpr_dispatch_id 0
		.amdhsa_user_sgpr_kernarg_preload_length 0
		.amdhsa_user_sgpr_kernarg_preload_offset 0
		.amdhsa_user_sgpr_private_segment_size 0
		.amdhsa_uses_dynamic_stack 0
		.amdhsa_enable_private_segment 0
		.amdhsa_system_sgpr_workgroup_id_x 1
		.amdhsa_system_sgpr_workgroup_id_y 1
		.amdhsa_system_sgpr_workgroup_id_z 0
		.amdhsa_system_sgpr_workgroup_info 0
		.amdhsa_system_vgpr_workitem_id 0
		.amdhsa_next_free_vgpr 81
		.amdhsa_next_free_sgpr 96
		.amdhsa_accum_offset 36
		.amdhsa_reserve_vcc 1
		.amdhsa_float_round_mode_32 0
		.amdhsa_float_round_mode_16_64 0
		.amdhsa_float_denorm_mode_32 3
		.amdhsa_float_denorm_mode_16_64 3
		.amdhsa_dx10_clamp 1
		.amdhsa_ieee_mode 1
		.amdhsa_fp16_overflow 0
		.amdhsa_tg_split 0
		.amdhsa_exception_fp_ieee_invalid_op 0
		.amdhsa_exception_fp_denorm_src 0
		.amdhsa_exception_fp_ieee_div_zero 0
		.amdhsa_exception_fp_ieee_overflow 0
		.amdhsa_exception_fp_ieee_underflow 0
		.amdhsa_exception_fp_ieee_inexact 0
		.amdhsa_exception_int_div_zero 0
	.end_amdhsa_kernel
	.section	.text._ZN9rocsolver6v33100L22larf_left_kernel_smallILi64EfiPKPfEEvT1_S5_T2_lS5_lPKT0_lS6_lS5_l,"axG",@progbits,_ZN9rocsolver6v33100L22larf_left_kernel_smallILi64EfiPKPfEEvT1_S5_T2_lS5_lPKT0_lS6_lS5_l,comdat
.Lfunc_end10:
	.size	_ZN9rocsolver6v33100L22larf_left_kernel_smallILi64EfiPKPfEEvT1_S5_T2_lS5_lPKT0_lS6_lS5_l, .Lfunc_end10-_ZN9rocsolver6v33100L22larf_left_kernel_smallILi64EfiPKPfEEvT1_S5_T2_lS5_lPKT0_lS6_lS5_l
                                        ; -- End function
	.set _ZN9rocsolver6v33100L22larf_left_kernel_smallILi64EfiPKPfEEvT1_S5_T2_lS5_lPKT0_lS6_lS5_l.num_vgpr, 35
	.set _ZN9rocsolver6v33100L22larf_left_kernel_smallILi64EfiPKPfEEvT1_S5_T2_lS5_lPKT0_lS6_lS5_l.num_agpr, 0
	.set _ZN9rocsolver6v33100L22larf_left_kernel_smallILi64EfiPKPfEEvT1_S5_T2_lS5_lPKT0_lS6_lS5_l.numbered_sgpr, 51
	.set _ZN9rocsolver6v33100L22larf_left_kernel_smallILi64EfiPKPfEEvT1_S5_T2_lS5_lPKT0_lS6_lS5_l.num_named_barrier, 0
	.set _ZN9rocsolver6v33100L22larf_left_kernel_smallILi64EfiPKPfEEvT1_S5_T2_lS5_lPKT0_lS6_lS5_l.private_seg_size, 0
	.set _ZN9rocsolver6v33100L22larf_left_kernel_smallILi64EfiPKPfEEvT1_S5_T2_lS5_lPKT0_lS6_lS5_l.uses_vcc, 1
	.set _ZN9rocsolver6v33100L22larf_left_kernel_smallILi64EfiPKPfEEvT1_S5_T2_lS5_lPKT0_lS6_lS5_l.uses_flat_scratch, 0
	.set _ZN9rocsolver6v33100L22larf_left_kernel_smallILi64EfiPKPfEEvT1_S5_T2_lS5_lPKT0_lS6_lS5_l.has_dyn_sized_stack, 0
	.set _ZN9rocsolver6v33100L22larf_left_kernel_smallILi64EfiPKPfEEvT1_S5_T2_lS5_lPKT0_lS6_lS5_l.has_recursion, 0
	.set _ZN9rocsolver6v33100L22larf_left_kernel_smallILi64EfiPKPfEEvT1_S5_T2_lS5_lPKT0_lS6_lS5_l.has_indirect_call, 0
	.section	.AMDGPU.csdata,"",@progbits
; Kernel info:
; codeLenInByte = 2900
; TotalNumSgprs: 57
; NumVgprs: 35
; NumAgprs: 0
; TotalNumVgprs: 35
; ScratchSize: 0
; MemoryBound: 0
; FloatMode: 240
; IeeeMode: 1
; LDSByteSize: 8448 bytes/workgroup (compile time only)
; SGPRBlocks: 12
; VGPRBlocks: 10
; NumSGPRsForWavesPerEU: 102
; NumVGPRsForWavesPerEU: 81
; AccumOffset: 36
; Occupancy: 5
; WaveLimiterHint : 1
; COMPUTE_PGM_RSRC2:SCRATCH_EN: 0
; COMPUTE_PGM_RSRC2:USER_SGPR: 2
; COMPUTE_PGM_RSRC2:TRAP_HANDLER: 0
; COMPUTE_PGM_RSRC2:TGID_X_EN: 1
; COMPUTE_PGM_RSRC2:TGID_Y_EN: 1
; COMPUTE_PGM_RSRC2:TGID_Z_EN: 0
; COMPUTE_PGM_RSRC2:TIDIG_COMP_CNT: 0
; COMPUTE_PGM_RSRC3_GFX90A:ACCUM_OFFSET: 8
; COMPUTE_PGM_RSRC3_GFX90A:TG_SPLIT: 0
	.section	.text._ZN9rocsolver6v33100L22larf_left_kernel_smallILi128EfiPKPfEEvT1_S5_T2_lS5_lPKT0_lS6_lS5_l,"axG",@progbits,_ZN9rocsolver6v33100L22larf_left_kernel_smallILi128EfiPKPfEEvT1_S5_T2_lS5_lPKT0_lS6_lS5_l,comdat
	.globl	_ZN9rocsolver6v33100L22larf_left_kernel_smallILi128EfiPKPfEEvT1_S5_T2_lS5_lPKT0_lS6_lS5_l ; -- Begin function _ZN9rocsolver6v33100L22larf_left_kernel_smallILi128EfiPKPfEEvT1_S5_T2_lS5_lPKT0_lS6_lS5_l
	.p2align	8
	.type	_ZN9rocsolver6v33100L22larf_left_kernel_smallILi128EfiPKPfEEvT1_S5_T2_lS5_lPKT0_lS6_lS5_l,@function
_ZN9rocsolver6v33100L22larf_left_kernel_smallILi128EfiPKPfEEvT1_S5_T2_lS5_lPKT0_lS6_lS5_l: ; @_ZN9rocsolver6v33100L22larf_left_kernel_smallILi128EfiPKPfEEvT1_S5_T2_lS5_lPKT0_lS6_lS5_l
; %bb.0:
	s_load_dwordx8 s[8:15], s[0:1], 0x28
	s_load_dwordx2 s[22:23], s[0:1], 0x0
	s_mov_b32 s20, s3
	s_ashr_i32 s3, s2, 31
	s_lshl_b64 s[4:5], s[2:3], 3
	s_waitcnt lgkmcnt(0)
	s_add_u32 s6, s12, s4
	s_addc_u32 s7, s13, s5
	s_load_dwordx2 s[12:13], s[6:7], 0x0
	v_cmp_gt_i32_e64 s[18:19], s22, v0
	v_xad_u32 v4, v0, -1, s22
	s_and_saveexec_b64 s[16:17], s[18:19]
	s_cbranch_execz .LBB11_17
; %bb.1:
	s_load_dwordx4 s[24:27], s[0:1], 0x8
	s_load_dword s21, s[0:1], 0x18
	s_movk_i32 s6, 0xb7f
	v_cmp_lt_u32_e32 vcc, s6, v4
                                        ; implicit-def: $vgpr1
                                        ; implicit-def: $vgpr5
	s_waitcnt lgkmcnt(0)
	s_add_u32 s4, s24, s4
	s_addc_u32 s5, s25, s5
	s_load_dwordx2 s[4:5], s[4:5], 0x0
	s_lshl_b64 s[6:7], s[26:27], 2
	s_waitcnt lgkmcnt(0)
	s_add_u32 s24, s4, s6
	s_addc_u32 s25, s5, s7
	s_sub_i32 s4, 1, s22
	s_mul_i32 s4, s21, s4
	s_cmp_lt_i32 s21, 1
	s_cselect_b32 s30, s4, 0
	s_mov_b64 s[4:5], 0
	s_and_saveexec_b64 s[6:7], vcc
	s_xor_b64 s[26:27], exec, s[6:7]
	s_cbranch_execnz .LBB11_4
; %bb.2:
	s_andn2_saveexec_b64 s[6:7], s[26:27]
	s_cbranch_execnz .LBB11_14
.LBB11_3:
	s_or_b64 exec, exec, s[6:7]
	s_and_b64 exec, exec, s[4:5]
	s_cbranch_execnz .LBB11_15
	s_branch .LBB11_17
.LBB11_4:
	s_lshl_b32 s31, s21, 7
	s_sub_i32 s6, 0, s31
	s_cmp_lt_i32 s31, 0
	s_cselect_b64 vcc, -1, 0
	s_and_b64 s[4:5], vcc, exec
	v_lshrrev_b32_e32 v5, 7, v4
	s_cselect_b32 s6, s6, s31
	v_mul_lo_u32 v1, v0, s21
	v_mul_hi_u32 v2, s6, v5
	v_add_u32_e32 v1, s30, v1
	v_cmp_eq_u32_e64 s[4:5], 0, v2
	v_mul_lo_u32 v2, s6, v5
	v_add_u32_e32 v3, v1, v2
	v_sub_u32_e32 v2, v1, v2
	v_cmp_gt_i32_e64 s[6:7], v2, v1
	s_nop 1
	v_cndmask_b32_e64 v2, 0, 1, s[6:7]
	v_cmp_lt_i32_e64 s[6:7], v3, v1
	s_nop 1
	v_cndmask_b32_e64 v1, 0, 1, s[6:7]
	v_cndmask_b32_e32 v1, v1, v2, vcc
	v_and_b32_e32 v1, 1, v1
	v_cmp_eq_u32_e32 vcc, 1, v1
	s_xor_b64 s[28:29], vcc, -1
	s_mov_b64 s[6:7], -1
	s_and_b64 s[28:29], s[28:29], s[4:5]
	v_mov_b32_e32 v1, v0
	s_and_saveexec_b64 s[4:5], s[28:29]
	s_cbranch_execz .LBB11_13
; %bb.5:
	v_add_u32_e32 v2, -1, v5
	v_or_b32_e32 v1, 0x80, v0
	v_lshrrev_b32_e32 v3, 1, v2
	s_mov_b32 s33, 0
	v_add_u32_e32 v6, 1, v3
	v_cmp_lt_u32_e32 vcc, 5, v2
	v_mov_b32_e32 v9, 0
	v_mov_b64_e32 v[2:3], v[0:1]
	s_and_saveexec_b64 s[6:7], vcc
	s_cbranch_execz .LBB11_9
; %bb.6:
	v_and_b32_e32 v7, -4, v6
	v_lshlrev_b32_e32 v8, 2, v0
	s_mov_b64 s[28:29], 0
	v_mov_b64_e32 v[2:3], v[0:1]
.LBB11_7:                               ; =>This Inner Loop Header: Depth=1
	v_mul_lo_u32 v9, v2, s21
	v_mul_lo_u32 v1, v3, s21
	v_add_u32_e32 v10, s30, v9
	v_add_u32_e32 v12, s30, v1
	v_ashrrev_i32_e32 v11, 31, v10
	v_ashrrev_i32_e32 v13, 31, v12
	v_lshl_add_u64 v[10:11], v[10:11], 2, s[24:25]
	v_lshl_add_u64 v[12:13], v[12:13], 2, s[24:25]
	flat_load_dword v1, v[10:11]
	flat_load_dword v9, v[12:13]
	v_add_u32_e32 v10, 0x100, v2
	v_add_u32_e32 v11, 0x100, v3
	v_mul_lo_u32 v10, v10, s21
	v_mul_lo_u32 v11, v11, s21
	v_add_u32_e32 v10, s30, v10
	v_add_u32_e32 v12, s30, v11
	v_ashrrev_i32_e32 v11, 31, v10
	v_ashrrev_i32_e32 v13, 31, v12
	v_lshl_add_u64 v[10:11], v[10:11], 2, s[24:25]
	v_lshl_add_u64 v[12:13], v[12:13], 2, s[24:25]
	v_add_u32_e32 v7, -4, v7
	s_add_i32 s33, s33, 8
	v_cmp_eq_u32_e32 vcc, 0, v7
	s_or_b64 s[28:29], vcc, s[28:29]
	s_waitcnt vmcnt(0) lgkmcnt(0)
	ds_write2st64_b32 v8, v1, v9 offset1:2
	flat_load_dword v1, v[10:11]
	flat_load_dword v9, v[12:13]
	v_add_u32_e32 v10, 0x200, v2
	v_add_u32_e32 v11, 0x200, v3
	v_mul_lo_u32 v10, v10, s21
	v_mul_lo_u32 v11, v11, s21
	v_add_u32_e32 v10, s30, v10
	v_add_u32_e32 v12, s30, v11
	v_ashrrev_i32_e32 v11, 31, v10
	v_ashrrev_i32_e32 v13, 31, v12
	v_lshl_add_u64 v[10:11], v[10:11], 2, s[24:25]
	v_lshl_add_u64 v[12:13], v[12:13], 2, s[24:25]
	s_waitcnt vmcnt(0) lgkmcnt(0)
	ds_write2st64_b32 v8, v1, v9 offset0:4 offset1:6
	flat_load_dword v1, v[10:11]
	flat_load_dword v9, v[12:13]
	v_add_u32_e32 v10, 0x300, v2
	v_add_u32_e32 v11, 0x300, v3
	v_mul_lo_u32 v10, v10, s21
	v_mul_lo_u32 v11, v11, s21
	v_add_u32_e32 v10, s30, v10
	v_add_u32_e32 v12, s30, v11
	v_ashrrev_i32_e32 v11, 31, v10
	v_ashrrev_i32_e32 v13, 31, v12
	v_lshl_add_u64 v[10:11], v[10:11], 2, s[24:25]
	v_lshl_add_u64 v[12:13], v[12:13], 2, s[24:25]
	v_add_u32_e32 v3, 0x400, v3
	v_add_u32_e32 v2, 0x400, v2
	s_waitcnt vmcnt(0) lgkmcnt(0)
	ds_write2st64_b32 v8, v1, v9 offset0:8 offset1:10
	flat_load_dword v1, v[10:11]
	flat_load_dword v14, v[12:13]
	v_mov_b32_e32 v9, s33
	s_waitcnt vmcnt(0) lgkmcnt(0)
	ds_write2st64_b32 v8, v1, v14 offset0:12 offset1:14
	v_add_u32_e32 v8, 0x1000, v8
	s_andn2_b64 exec, exec, s[28:29]
	s_cbranch_execnz .LBB11_7
; %bb.8:
	s_or_b64 exec, exec, s[28:29]
.LBB11_9:
	s_or_b64 exec, exec, s[6:7]
	v_and_b32_e32 v1, 3, v6
	v_cmp_ne_u32_e32 vcc, 0, v1
	s_and_saveexec_b64 s[6:7], vcc
	s_cbranch_execz .LBB11_12
; %bb.10:
	v_lshlrev_b32_e32 v6, 2, v0
	v_lshl_or_b32 v6, v9, 9, v6
	s_mov_b64 s[28:29], 0
.LBB11_11:                              ; =>This Inner Loop Header: Depth=1
	v_mul_lo_u32 v8, v2, s21
	v_mul_lo_u32 v7, v3, s21
	v_add_u32_e32 v8, s30, v8
	v_add_u32_e32 v10, s30, v7
	v_ashrrev_i32_e32 v9, 31, v8
	v_ashrrev_i32_e32 v11, 31, v10
	v_lshl_add_u64 v[8:9], v[8:9], 2, s[24:25]
	v_lshl_add_u64 v[10:11], v[10:11], 2, s[24:25]
	flat_load_dword v7, v[8:9]
	flat_load_dword v12, v[10:11]
	v_add_u32_e32 v1, -1, v1
	v_cmp_eq_u32_e32 vcc, 0, v1
	v_add_u32_e32 v3, 0x100, v3
	v_add_u32_e32 v2, 0x100, v2
	s_or_b64 s[28:29], vcc, s[28:29]
	s_waitcnt vmcnt(0) lgkmcnt(0)
	ds_write2st64_b32 v6, v7, v12 offset1:2
	v_add_u32_e32 v6, 0x400, v6
	s_andn2_b64 exec, exec, s[28:29]
	s_cbranch_execnz .LBB11_11
.LBB11_12:
	s_or_b64 exec, exec, s[6:7]
	v_add_u32_e32 v2, 1, v5
	v_and_b32_e32 v3, 0x3fffffe, v2
	v_cmp_ne_u32_e32 vcc, v2, v3
	v_lshl_or_b32 v1, v3, 7, v0
	s_orn2_b64 s[6:7], vcc, exec
.LBB11_13:
	s_or_b64 exec, exec, s[4:5]
	v_mov_b32_e32 v5, s31
	s_and_b64 s[4:5], s[6:7], exec
	s_andn2_saveexec_b64 s[6:7], s[26:27]
	s_cbranch_execz .LBB11_3
.LBB11_14:
	s_lshl_b32 s26, s21, 7
	v_mov_b32_e32 v5, s26
	s_or_b64 s[4:5], s[4:5], exec
	v_mov_b32_e32 v1, v0
	s_or_b64 exec, exec, s[6:7]
	s_and_b64 exec, exec, s[4:5]
	s_cbranch_execz .LBB11_17
.LBB11_15:
	v_mul_lo_u32 v2, v1, s21
	v_add_u32_e32 v2, s30, v2
	v_lshlrev_b32_e32 v6, 2, v1
	s_mov_b64 s[4:5], 0
.LBB11_16:                              ; =>This Inner Loop Header: Depth=1
	v_ashrrev_i32_e32 v3, 31, v2
	v_lshl_add_u64 v[8:9], v[2:3], 2, s[24:25]
	flat_load_dword v3, v[8:9]
	v_add_u32_e32 v1, 0x80, v1
	v_cmp_le_i32_e32 vcc, s22, v1
	v_add_u32_e32 v2, v2, v5
	s_or_b64 s[4:5], vcc, s[4:5]
	s_waitcnt vmcnt(0) lgkmcnt(0)
	ds_write_b32 v6, v3
	v_add_u32_e32 v6, 0x200, v6
	s_andn2_b64 exec, exec, s[4:5]
	s_cbranch_execnz .LBB11_16
.LBB11_17:
	s_or_b64 exec, exec, s[16:17]
	s_cmp_ge_i32 s20, s23
	s_waitcnt lgkmcnt(0)
	s_barrier
	s_cbranch_scc1 .LBB11_55
; %bb.18:
	s_load_dword s21, s[0:1], 0x48
	s_lshl_b64 s[0:1], s[14:15], 2
	s_add_u32 s0, s12, s0
	s_mul_i32 s3, s10, s3
	s_mul_hi_u32 s4, s10, s2
	s_addc_u32 s1, s13, s1
	s_add_i32 s3, s4, s3
	s_mul_i32 s4, s11, s2
	s_add_i32 s3, s3, s4
	s_mul_i32 s2, s10, s2
	s_lshl_b64 s[2:3], s[2:3], 2
	s_add_u32 s24, s8, s2
	v_and_b32_e32 v1, 63, v0
	s_addc_u32 s25, s9, s3
	v_cmp_eq_u32_e64 s[2:3], 0, v1
	v_lshrrev_b32_e32 v1, 7, v4
	v_add_u32_e32 v3, -1, v1
	v_add_u32_e32 v2, 1, v1
	v_lshrrev_b32_e32 v1, 1, v3
	s_movk_i32 s8, 0x37f
	s_movk_i32 s10, 0x7f
	v_add_u32_e32 v5, 1, v1
	v_cmp_lt_u32_e64 s[8:9], s8, v4
	v_cmp_lt_u32_e64 s[10:11], s10, v4
	v_and_b32_e32 v4, 0x3fffffe, v2
	v_lshl_or_b32 v15, v4, 7, v0
	v_and_b32_e32 v16, 3, v5
	v_and_b32_e32 v17, -4, v5
	v_cmp_ne_u32_e64 s[16:17], v2, v4
	v_mov_b32_e32 v5, 0
	v_mbcnt_lo_u32_b32 v4, -1, 0
	s_cmp_gt_i32 s22, 1
	v_and_b32_e32 v8, 7, v2
	v_cmp_lt_u32_e64 s[12:13], 5, v3
	v_lshlrev_b32_e32 v2, 2, v0
	v_mov_b32_e32 v3, v5
	v_mbcnt_hi_u32_b32 v18, -1, v4
	v_mov_b32_e32 v4, 0x80
	s_cselect_b64 s[26:27], -1, 0
	v_lshrrev_b32_e32 v14, 4, v0
	v_cmp_eq_u32_e64 s[4:5], 0, v0
	v_cmp_ne_u32_e64 s[6:7], 0, v8
	v_or_b32_e32 v1, 0x80, v0
	v_cmp_ne_u32_e64 s[14:15], 0, v16
	v_lshl_add_u64 v[6:7], s[0:1], 0, v[2:3]
	s_waitcnt lgkmcnt(0)
	s_mul_i32 s28, s20, s21
	s_lshl_b32 s33, s21, 6
	v_lshlrev_b32_e32 v3, 2, v8
	s_mov_b64 s[30:31], 0x200
	s_mov_b64 s[34:35], 0x1000
	v_and_b32_e32 v19, 63, v18
	v_lshl_or_b32 v20, v18, 2, v4
	s_branch .LBB11_20
.LBB11_19:                              ;   in Loop: Header=BB11_20 Depth=1
	s_or_b64 exec, exec, s[38:39]
	s_add_i32 s20, s20, 64
	s_add_i32 s28, s28, s33
	s_cmp_ge_i32 s20, s23
	s_cbranch_scc1 .LBB11_55
.LBB11_20:                              ; =>This Loop Header: Depth=1
                                        ;     Child Loop BB11_23 Depth 2
                                        ;     Child Loop BB11_27 Depth 2
	;; [unrolled: 1-line block ×5, first 2 shown]
	s_ashr_i32 s29, s28, 31
	s_lshl_b64 s[36:37], s[28:29], 2
	v_mov_b32_e32 v10, 0
	s_and_saveexec_b64 s[38:39], s[18:19]
	s_cbranch_execz .LBB11_30
; %bb.21:                               ;   in Loop: Header=BB11_20 Depth=1
	v_mov_b32_e32 v10, 0
	v_mov_b32_e32 v4, v0
	s_and_saveexec_b64 s[40:41], s[6:7]
	s_cbranch_execz .LBB11_25
; %bb.22:                               ;   in Loop: Header=BB11_20 Depth=1
	v_lshl_add_u64 v[8:9], v[6:7], 0, s[36:37]
	v_mov_b32_e32 v10, 0
	s_mov_b64 s[42:43], 0
	v_mov_b32_e32 v11, v3
	v_mov_b32_e32 v12, v2
	;; [unrolled: 1-line block ×3, first 2 shown]
.LBB11_23:                              ;   Parent Loop BB11_20 Depth=1
                                        ; =>  This Inner Loop Header: Depth=2
	flat_load_dword v13, v[8:9]
	ds_read_b32 v21, v12
	v_add_u32_e32 v11, -4, v11
	v_cmp_eq_u32_e32 vcc, 0, v11
	v_add_u32_e32 v4, 0x80, v4
	v_add_u32_e32 v12, 0x200, v12
	v_lshl_add_u64 v[8:9], v[8:9], 0, s[30:31]
	s_or_b64 s[42:43], vcc, s[42:43]
	s_waitcnt vmcnt(0) lgkmcnt(0)
	v_fmac_f32_e32 v10, v21, v13
	s_andn2_b64 exec, exec, s[42:43]
	s_cbranch_execnz .LBB11_23
; %bb.24:                               ;   in Loop: Header=BB11_20 Depth=1
	s_or_b64 exec, exec, s[42:43]
.LBB11_25:                              ;   in Loop: Header=BB11_20 Depth=1
	s_or_b64 exec, exec, s[40:41]
	s_and_saveexec_b64 s[40:41], s[8:9]
	s_cbranch_execz .LBB11_29
; %bb.26:                               ;   in Loop: Header=BB11_20 Depth=1
	s_add_u32 s42, s0, s36
	s_addc_u32 s43, s1, s37
	v_lshlrev_b32_e32 v11, 2, v4
	v_lshl_add_u64 v[8:9], v[4:5], 2, s[42:43]
	s_mov_b64 s[42:43], 0
.LBB11_27:                              ;   Parent Loop BB11_20 Depth=1
                                        ; =>  This Inner Loop Header: Depth=2
	flat_load_dword v21, v[8:9]
	flat_load_dword v28, v[8:9] offset:512
	flat_load_dword v29, v[8:9] offset:1024
	;; [unrolled: 1-line block ×7, first 2 shown]
	ds_read2st64_b32 v[12:13], v11 offset1:2
	ds_read2st64_b32 v[22:23], v11 offset0:4 offset1:6
	ds_read2st64_b32 v[24:25], v11 offset0:8 offset1:10
	;; [unrolled: 1-line block ×3, first 2 shown]
	v_add_u32_e32 v4, 0x400, v4
	v_cmp_le_i32_e32 vcc, s22, v4
	v_add_u32_e32 v11, 0x1000, v11
	v_lshl_add_u64 v[8:9], v[8:9], 0, s[34:35]
	s_or_b64 s[42:43], vcc, s[42:43]
	s_waitcnt vmcnt(0) lgkmcnt(0)
	v_fmac_f32_e32 v10, v12, v21
	v_fmac_f32_e32 v10, v13, v28
	;; [unrolled: 1-line block ×8, first 2 shown]
	s_andn2_b64 exec, exec, s[42:43]
	s_cbranch_execnz .LBB11_27
; %bb.28:                               ;   in Loop: Header=BB11_20 Depth=1
	s_or_b64 exec, exec, s[42:43]
.LBB11_29:                              ;   in Loop: Header=BB11_20 Depth=1
	s_or_b64 exec, exec, s[40:41]
.LBB11_30:                              ;   in Loop: Header=BB11_20 Depth=1
	s_or_b64 exec, exec, s[38:39]
	s_and_b64 vcc, exec, s[26:27]
	s_cbranch_vccz .LBB11_37
; %bb.31:                               ;   in Loop: Header=BB11_20 Depth=1
	v_cmp_ne_u32_e32 vcc, 63, v19
	s_nop 1
	v_addc_co_u32_e32 v4, vcc, 0, v18, vcc
	v_lshlrev_b32_e32 v4, 2, v4
	ds_bpermute_b32 v4, v4, v10
	v_cmp_gt_u32_e32 vcc, 62, v19
	s_waitcnt lgkmcnt(0)
	v_add_f32_e32 v4, v10, v4
	v_cndmask_b32_e64 v8, 0, 2, vcc
	v_add_lshl_u32 v8, v8, v18, 2
	ds_bpermute_b32 v8, v8, v4
	v_cmp_gt_u32_e32 vcc, 60, v19
	s_waitcnt lgkmcnt(0)
	v_add_f32_e32 v4, v4, v8
	v_cndmask_b32_e64 v9, 0, 4, vcc
	v_add_lshl_u32 v9, v9, v18, 2
	;; [unrolled: 6-line block ×4, first 2 shown]
	ds_bpermute_b32 v8, v8, v4
	s_waitcnt lgkmcnt(0)
	v_add_f32_e32 v4, v4, v8
	ds_bpermute_b32 v8, v20, v4
	s_waitcnt lgkmcnt(0)
	v_add_f32_e32 v8, v4, v8
	s_and_saveexec_b64 s[38:39], s[2:3]
; %bb.32:                               ;   in Loop: Header=BB11_20 Depth=1
	ds_write_b32 v14, v8 offset:8192
; %bb.33:                               ;   in Loop: Header=BB11_20 Depth=1
	s_or_b64 exec, exec, s[38:39]
	s_mov_b64 s[40:41], 0
	s_mov_b64 s[38:39], 0
	s_waitcnt lgkmcnt(0)
	s_barrier
                                        ; implicit-def: $vgpr4
	s_and_saveexec_b64 s[42:43], s[4:5]
	s_xor_b64 s[42:43], exec, s[42:43]
	s_cbranch_execz .LBB11_35
; %bb.34:                               ;   in Loop: Header=BB11_20 Depth=1
	ds_read_b32 v4, v5 offset:8196
	s_mov_b64 s[38:39], exec
	s_waitcnt lgkmcnt(0)
	v_add_f32_e32 v4, v8, v4
.LBB11_35:                              ;   in Loop: Header=BB11_20 Depth=1
	s_or_b64 exec, exec, s[42:43]
	s_and_b64 vcc, exec, s[40:41]
	s_cbranch_vccnz .LBB11_38
.LBB11_36:                              ;   in Loop: Header=BB11_20 Depth=1
	v_mov_b32_e32 v10, v4
	s_and_saveexec_b64 s[40:41], s[38:39]
	s_cbranch_execnz .LBB11_39
	s_branch .LBB11_40
.LBB11_37:                              ;   in Loop: Header=BB11_20 Depth=1
	s_mov_b64 s[38:39], 0
                                        ; implicit-def: $vgpr4
	s_cbranch_execz .LBB11_36
.LBB11_38:                              ;   in Loop: Header=BB11_20 Depth=1
	s_andn2_b64 s[38:39], s[38:39], exec
	s_and_b64 s[40:41], s[4:5], exec
	s_or_b64 s[38:39], s[38:39], s[40:41]
	s_and_saveexec_b64 s[40:41], s[38:39]
.LBB11_39:                              ;   in Loop: Header=BB11_20 Depth=1
	ds_write_b32 v5, v10 offset:8192
.LBB11_40:                              ;   in Loop: Header=BB11_20 Depth=1
	s_or_b64 exec, exec, s[40:41]
	s_waitcnt lgkmcnt(0)
	s_barrier
	s_and_saveexec_b64 s[38:39], s[18:19]
	s_cbranch_execz .LBB11_19
; %bb.41:                               ;   in Loop: Header=BB11_20 Depth=1
	global_load_dword v4, v5, s[24:25]
	ds_read_b32 v8, v5 offset:8192
	s_mov_b64 s[42:43], -1
	v_mov_b32_e32 v10, v0
	s_waitcnt vmcnt(0) lgkmcnt(0)
	v_mul_f32_e64 v8, v8, -v4
	v_mov_b32_e32 v4, v2
	s_and_saveexec_b64 s[40:41], s[10:11]
	s_cbranch_execz .LBB11_52
; %bb.42:                               ;   in Loop: Header=BB11_20 Depth=1
	s_mul_i32 s29, s20, s21
	v_mov_b32_e32 v9, v8
	v_mov_b32_e32 v13, 0
	v_mov_b64_e32 v[10:11], v[0:1]
	s_and_saveexec_b64 s[42:43], s[12:13]
	s_cbranch_execz .LBB11_46
; %bb.43:                               ;   in Loop: Header=BB11_20 Depth=1
	s_add_i32 s46, s29, 0x100
	s_add_i32 s48, s29, 0x200
	;; [unrolled: 1-line block ×3, first 2 shown]
	s_mov_b32 s47, s46
	s_mov_b32 s49, s48
	;; [unrolled: 1-line block ×4, first 2 shown]
	s_mov_b64 s[44:45], 0
	v_mov_b32_e32 v4, v17
	v_mov_b32_e32 v12, v2
	v_mov_b64_e32 v[10:11], v[0:1]
.LBB11_44:                              ;   Parent Loop BB11_20 Depth=1
                                        ; =>  This Inner Loop Header: Depth=2
	v_add_u32_e32 v22, s29, v10
	v_add_u32_e32 v24, s29, v11
	v_ashrrev_i32_e32 v23, 31, v22
	v_ashrrev_i32_e32 v25, 31, v24
	v_lshl_add_u64 v[22:23], v[22:23], 2, s[0:1]
	v_lshl_add_u64 v[24:25], v[24:25], 2, s[0:1]
	flat_load_dword v26, v[22:23]
	flat_load_dword v27, v[24:25]
	ds_read2st64_b32 v[28:29], v12 offset1:2
	v_add_u32_e32 v30, s46, v10
	v_add_u32_e32 v32, s47, v11
	v_ashrrev_i32_e32 v31, 31, v30
	v_ashrrev_i32_e32 v33, 31, v32
	v_lshl_add_u64 v[30:31], v[30:31], 2, s[0:1]
	v_lshl_add_u64 v[32:33], v[32:33], 2, s[0:1]
	v_add_u32_e32 v4, -4, v4
	s_add_i32 s52, s52, 8
	v_cmp_eq_u32_e32 vcc, 0, v4
	v_mov_b32_e32 v13, s52
	s_or_b64 s[44:45], vcc, s[44:45]
	s_waitcnt vmcnt(0) lgkmcnt(0)
	v_pk_fma_f32 v[26:27], v[8:9], v[28:29], v[26:27]
	flat_store_dword v[22:23], v26
	flat_store_dword v[24:25], v27
	flat_load_dword v22, v[30:31]
	s_nop 0
	flat_load_dword v23, v[32:33]
	ds_read2st64_b32 v[28:29], v12 offset0:4 offset1:6
	v_add_u32_e32 v24, s48, v10
	v_add_u32_e32 v26, s49, v11
	v_ashrrev_i32_e32 v25, 31, v24
	v_ashrrev_i32_e32 v27, 31, v26
	v_lshl_add_u64 v[24:25], v[24:25], 2, s[0:1]
	v_lshl_add_u64 v[26:27], v[26:27], 2, s[0:1]
	s_waitcnt vmcnt(0) lgkmcnt(0)
	v_pk_fma_f32 v[22:23], v[8:9], v[28:29], v[22:23]
	flat_store_dword v[30:31], v22
	flat_store_dword v[32:33], v23
	flat_load_dword v22, v[24:25]
	s_nop 0
	flat_load_dword v23, v[26:27]
	ds_read2st64_b32 v[32:33], v12 offset0:8 offset1:10
	v_add_u32_e32 v28, s50, v10
	v_add_u32_e32 v30, s51, v11
	v_ashrrev_i32_e32 v29, 31, v28
	v_ashrrev_i32_e32 v31, 31, v30
	v_lshl_add_u64 v[28:29], v[28:29], 2, s[0:1]
	v_lshl_add_u64 v[30:31], v[30:31], 2, s[0:1]
	v_add_u32_e32 v11, 0x400, v11
	v_add_u32_e32 v10, 0x400, v10
	s_waitcnt vmcnt(0) lgkmcnt(0)
	v_pk_fma_f32 v[22:23], v[8:9], v[32:33], v[22:23]
	flat_store_dword v[24:25], v22
	flat_store_dword v[26:27], v23
	flat_load_dword v22, v[28:29]
	s_nop 0
	flat_load_dword v23, v[30:31]
	ds_read2st64_b32 v[24:25], v12 offset0:12 offset1:14
	v_add_u32_e32 v12, 0x1000, v12
	s_waitcnt vmcnt(0) lgkmcnt(0)
	v_pk_fma_f32 v[22:23], v[8:9], v[24:25], v[22:23]
	flat_store_dword v[28:29], v22
	flat_store_dword v[30:31], v23
	s_andn2_b64 exec, exec, s[44:45]
	s_cbranch_execnz .LBB11_44
; %bb.45:                               ;   in Loop: Header=BB11_20 Depth=1
	s_or_b64 exec, exec, s[44:45]
.LBB11_46:                              ;   in Loop: Header=BB11_20 Depth=1
	s_or_b64 exec, exec, s[42:43]
	s_and_saveexec_b64 s[42:43], s[14:15]
	s_cbranch_execz .LBB11_49
; %bb.47:                               ;   in Loop: Header=BB11_20 Depth=1
	v_lshl_or_b32 v4, v13, 9, v2
	s_mov_b64 s[44:45], 0
	v_mov_b32_e32 v12, v16
.LBB11_48:                              ;   Parent Loop BB11_20 Depth=1
                                        ; =>  This Inner Loop Header: Depth=2
	v_add_u32_e32 v22, s29, v10
	v_add_u32_e32 v24, s29, v11
	v_ashrrev_i32_e32 v23, 31, v22
	v_ashrrev_i32_e32 v25, 31, v24
	v_lshl_add_u64 v[22:23], v[22:23], 2, s[0:1]
	v_lshl_add_u64 v[24:25], v[24:25], 2, s[0:1]
	flat_load_dword v26, v[22:23]
	flat_load_dword v27, v[24:25]
	ds_read2st64_b32 v[28:29], v4 offset1:2
	v_add_u32_e32 v12, -1, v12
	v_cmp_eq_u32_e32 vcc, 0, v12
	v_add_u32_e32 v11, 0x100, v11
	v_add_u32_e32 v10, 0x100, v10
	;; [unrolled: 1-line block ×3, first 2 shown]
	s_or_b64 s[44:45], vcc, s[44:45]
	s_waitcnt vmcnt(0) lgkmcnt(0)
	v_pk_fma_f32 v[26:27], v[8:9], v[28:29], v[26:27]
	flat_store_dword v[22:23], v26
	flat_store_dword v[24:25], v27
	s_andn2_b64 exec, exec, s[44:45]
	s_cbranch_execnz .LBB11_48
.LBB11_49:                              ;   in Loop: Header=BB11_20 Depth=1
	s_or_b64 exec, exec, s[42:43]
	s_mov_b64 s[42:43], 0
                                        ; implicit-def: $vgpr4
	s_and_saveexec_b64 s[44:45], s[16:17]
; %bb.50:                               ;   in Loop: Header=BB11_20 Depth=1
	s_mov_b64 s[42:43], exec
	v_lshlrev_b32_e32 v4, 2, v15
; %bb.51:                               ;   in Loop: Header=BB11_20 Depth=1
	s_or_b64 exec, exec, s[44:45]
	s_orn2_b64 s[42:43], s[42:43], exec
	v_mov_b32_e32 v10, v15
.LBB11_52:                              ;   in Loop: Header=BB11_20 Depth=1
	s_or_b64 exec, exec, s[40:41]
	s_and_b64 exec, exec, s[42:43]
	s_cbranch_execz .LBB11_19
; %bb.53:                               ;   in Loop: Header=BB11_20 Depth=1
	s_add_u32 s36, s0, s36
	v_ashrrev_i32_e32 v11, 31, v10
	s_addc_u32 s37, s1, s37
	v_lshl_add_u64 v[12:13], v[10:11], 2, s[36:37]
	s_mov_b64 s[36:37], 0
.LBB11_54:                              ;   Parent Loop BB11_20 Depth=1
                                        ; =>  This Inner Loop Header: Depth=2
	flat_load_dword v9, v[12:13]
	ds_read_b32 v11, v4
	v_add_u32_e32 v10, 0x80, v10
	v_cmp_le_i32_e32 vcc, s22, v10
	s_or_b64 s[36:37], vcc, s[36:37]
	v_add_u32_e32 v4, 0x200, v4
	s_waitcnt vmcnt(0) lgkmcnt(0)
	v_fmac_f32_e32 v9, v8, v11
	flat_store_dword v[12:13], v9
	v_lshl_add_u64 v[12:13], v[12:13], 0, s[30:31]
	s_andn2_b64 exec, exec, s[36:37]
	s_cbranch_execnz .LBB11_54
	s_branch .LBB11_19
.LBB11_55:
	s_endpgm
	.section	.rodata,"a",@progbits
	.p2align	6, 0x0
	.amdhsa_kernel _ZN9rocsolver6v33100L22larf_left_kernel_smallILi128EfiPKPfEEvT1_S5_T2_lS5_lPKT0_lS6_lS5_l
		.amdhsa_group_segment_fixed_size 8704
		.amdhsa_private_segment_fixed_size 0
		.amdhsa_kernarg_size 88
		.amdhsa_user_sgpr_count 2
		.amdhsa_user_sgpr_dispatch_ptr 0
		.amdhsa_user_sgpr_queue_ptr 0
		.amdhsa_user_sgpr_kernarg_segment_ptr 1
		.amdhsa_user_sgpr_dispatch_id 0
		.amdhsa_user_sgpr_kernarg_preload_length 0
		.amdhsa_user_sgpr_kernarg_preload_offset 0
		.amdhsa_user_sgpr_private_segment_size 0
		.amdhsa_uses_dynamic_stack 0
		.amdhsa_enable_private_segment 0
		.amdhsa_system_sgpr_workgroup_id_x 1
		.amdhsa_system_sgpr_workgroup_id_y 1
		.amdhsa_system_sgpr_workgroup_id_z 0
		.amdhsa_system_sgpr_workgroup_info 0
		.amdhsa_system_vgpr_workitem_id 0
		.amdhsa_next_free_vgpr 35
		.amdhsa_next_free_sgpr 53
		.amdhsa_accum_offset 36
		.amdhsa_reserve_vcc 1
		.amdhsa_float_round_mode_32 0
		.amdhsa_float_round_mode_16_64 0
		.amdhsa_float_denorm_mode_32 3
		.amdhsa_float_denorm_mode_16_64 3
		.amdhsa_dx10_clamp 1
		.amdhsa_ieee_mode 1
		.amdhsa_fp16_overflow 0
		.amdhsa_tg_split 0
		.amdhsa_exception_fp_ieee_invalid_op 0
		.amdhsa_exception_fp_denorm_src 0
		.amdhsa_exception_fp_ieee_div_zero 0
		.amdhsa_exception_fp_ieee_overflow 0
		.amdhsa_exception_fp_ieee_underflow 0
		.amdhsa_exception_fp_ieee_inexact 0
		.amdhsa_exception_int_div_zero 0
	.end_amdhsa_kernel
	.section	.text._ZN9rocsolver6v33100L22larf_left_kernel_smallILi128EfiPKPfEEvT1_S5_T2_lS5_lPKT0_lS6_lS5_l,"axG",@progbits,_ZN9rocsolver6v33100L22larf_left_kernel_smallILi128EfiPKPfEEvT1_S5_T2_lS5_lPKT0_lS6_lS5_l,comdat
.Lfunc_end11:
	.size	_ZN9rocsolver6v33100L22larf_left_kernel_smallILi128EfiPKPfEEvT1_S5_T2_lS5_lPKT0_lS6_lS5_l, .Lfunc_end11-_ZN9rocsolver6v33100L22larf_left_kernel_smallILi128EfiPKPfEEvT1_S5_T2_lS5_lPKT0_lS6_lS5_l
                                        ; -- End function
	.set _ZN9rocsolver6v33100L22larf_left_kernel_smallILi128EfiPKPfEEvT1_S5_T2_lS5_lPKT0_lS6_lS5_l.num_vgpr, 35
	.set _ZN9rocsolver6v33100L22larf_left_kernel_smallILi128EfiPKPfEEvT1_S5_T2_lS5_lPKT0_lS6_lS5_l.num_agpr, 0
	.set _ZN9rocsolver6v33100L22larf_left_kernel_smallILi128EfiPKPfEEvT1_S5_T2_lS5_lPKT0_lS6_lS5_l.numbered_sgpr, 53
	.set _ZN9rocsolver6v33100L22larf_left_kernel_smallILi128EfiPKPfEEvT1_S5_T2_lS5_lPKT0_lS6_lS5_l.num_named_barrier, 0
	.set _ZN9rocsolver6v33100L22larf_left_kernel_smallILi128EfiPKPfEEvT1_S5_T2_lS5_lPKT0_lS6_lS5_l.private_seg_size, 0
	.set _ZN9rocsolver6v33100L22larf_left_kernel_smallILi128EfiPKPfEEvT1_S5_T2_lS5_lPKT0_lS6_lS5_l.uses_vcc, 1
	.set _ZN9rocsolver6v33100L22larf_left_kernel_smallILi128EfiPKPfEEvT1_S5_T2_lS5_lPKT0_lS6_lS5_l.uses_flat_scratch, 0
	.set _ZN9rocsolver6v33100L22larf_left_kernel_smallILi128EfiPKPfEEvT1_S5_T2_lS5_lPKT0_lS6_lS5_l.has_dyn_sized_stack, 0
	.set _ZN9rocsolver6v33100L22larf_left_kernel_smallILi128EfiPKPfEEvT1_S5_T2_lS5_lPKT0_lS6_lS5_l.has_recursion, 0
	.set _ZN9rocsolver6v33100L22larf_left_kernel_smallILi128EfiPKPfEEvT1_S5_T2_lS5_lPKT0_lS6_lS5_l.has_indirect_call, 0
	.section	.AMDGPU.csdata,"",@progbits
; Kernel info:
; codeLenInByte = 2996
; TotalNumSgprs: 59
; NumVgprs: 35
; NumAgprs: 0
; TotalNumVgprs: 35
; ScratchSize: 0
; MemoryBound: 0
; FloatMode: 240
; IeeeMode: 1
; LDSByteSize: 8704 bytes/workgroup (compile time only)
; SGPRBlocks: 7
; VGPRBlocks: 4
; NumSGPRsForWavesPerEU: 59
; NumVGPRsForWavesPerEU: 35
; AccumOffset: 36
; Occupancy: 8
; WaveLimiterHint : 1
; COMPUTE_PGM_RSRC2:SCRATCH_EN: 0
; COMPUTE_PGM_RSRC2:USER_SGPR: 2
; COMPUTE_PGM_RSRC2:TRAP_HANDLER: 0
; COMPUTE_PGM_RSRC2:TGID_X_EN: 1
; COMPUTE_PGM_RSRC2:TGID_Y_EN: 1
; COMPUTE_PGM_RSRC2:TGID_Z_EN: 0
; COMPUTE_PGM_RSRC2:TIDIG_COMP_CNT: 0
; COMPUTE_PGM_RSRC3_GFX90A:ACCUM_OFFSET: 8
; COMPUTE_PGM_RSRC3_GFX90A:TG_SPLIT: 0
	.section	.text._ZN9rocsolver6v33100L22larf_left_kernel_smallILi256EfiPKPfEEvT1_S5_T2_lS5_lPKT0_lS6_lS5_l,"axG",@progbits,_ZN9rocsolver6v33100L22larf_left_kernel_smallILi256EfiPKPfEEvT1_S5_T2_lS5_lPKT0_lS6_lS5_l,comdat
	.globl	_ZN9rocsolver6v33100L22larf_left_kernel_smallILi256EfiPKPfEEvT1_S5_T2_lS5_lPKT0_lS6_lS5_l ; -- Begin function _ZN9rocsolver6v33100L22larf_left_kernel_smallILi256EfiPKPfEEvT1_S5_T2_lS5_lPKT0_lS6_lS5_l
	.p2align	8
	.type	_ZN9rocsolver6v33100L22larf_left_kernel_smallILi256EfiPKPfEEvT1_S5_T2_lS5_lPKT0_lS6_lS5_l,@function
_ZN9rocsolver6v33100L22larf_left_kernel_smallILi256EfiPKPfEEvT1_S5_T2_lS5_lPKT0_lS6_lS5_l: ; @_ZN9rocsolver6v33100L22larf_left_kernel_smallILi256EfiPKPfEEvT1_S5_T2_lS5_lPKT0_lS6_lS5_l
; %bb.0:
	s_load_dwordx8 s[8:15], s[0:1], 0x28
	s_load_dwordx2 s[22:23], s[0:1], 0x0
	s_mov_b32 s20, s3
	s_ashr_i32 s3, s2, 31
	s_lshl_b64 s[4:5], s[2:3], 3
	s_waitcnt lgkmcnt(0)
	s_add_u32 s6, s12, s4
	s_addc_u32 s7, s13, s5
	s_load_dwordx2 s[12:13], s[6:7], 0x0
	v_cmp_gt_i32_e64 s[18:19], s22, v0
	v_xad_u32 v4, v0, -1, s22
	s_and_saveexec_b64 s[16:17], s[18:19]
	s_cbranch_execz .LBB12_17
; %bb.1:
	s_load_dwordx4 s[24:27], s[0:1], 0x8
	s_load_dword s21, s[0:1], 0x18
	s_movk_i32 s6, 0x16ff
	v_cmp_lt_u32_e32 vcc, s6, v4
                                        ; implicit-def: $vgpr1
                                        ; implicit-def: $vgpr5
	s_waitcnt lgkmcnt(0)
	s_add_u32 s4, s24, s4
	s_addc_u32 s5, s25, s5
	s_load_dwordx2 s[4:5], s[4:5], 0x0
	s_lshl_b64 s[6:7], s[26:27], 2
	s_waitcnt lgkmcnt(0)
	s_add_u32 s24, s4, s6
	s_addc_u32 s25, s5, s7
	s_sub_i32 s4, 1, s22
	s_mul_i32 s4, s21, s4
	s_cmp_lt_i32 s21, 1
	s_cselect_b32 s30, s4, 0
	s_mov_b64 s[4:5], 0
	s_and_saveexec_b64 s[6:7], vcc
	s_xor_b64 s[26:27], exec, s[6:7]
	s_cbranch_execnz .LBB12_4
; %bb.2:
	s_andn2_saveexec_b64 s[6:7], s[26:27]
	s_cbranch_execnz .LBB12_14
.LBB12_3:
	s_or_b64 exec, exec, s[6:7]
	s_and_b64 exec, exec, s[4:5]
	s_cbranch_execnz .LBB12_15
	s_branch .LBB12_17
.LBB12_4:
	s_lshl_b32 s31, s21, 8
	s_sub_i32 s6, 0, s31
	s_cmp_lt_i32 s31, 0
	s_cselect_b64 vcc, -1, 0
	s_and_b64 s[4:5], vcc, exec
	v_lshrrev_b32_e32 v5, 8, v4
	s_cselect_b32 s6, s6, s31
	v_mul_lo_u32 v1, v0, s21
	v_mul_hi_u32 v2, s6, v5
	v_add_u32_e32 v1, s30, v1
	v_cmp_eq_u32_e64 s[4:5], 0, v2
	v_mul_lo_u32 v2, s6, v5
	v_add_u32_e32 v3, v1, v2
	v_sub_u32_e32 v2, v1, v2
	v_cmp_gt_i32_e64 s[6:7], v2, v1
	s_nop 1
	v_cndmask_b32_e64 v2, 0, 1, s[6:7]
	v_cmp_lt_i32_e64 s[6:7], v3, v1
	s_nop 1
	v_cndmask_b32_e64 v1, 0, 1, s[6:7]
	v_cndmask_b32_e32 v1, v1, v2, vcc
	v_and_b32_e32 v1, 1, v1
	v_cmp_eq_u32_e32 vcc, 1, v1
	s_xor_b64 s[28:29], vcc, -1
	s_mov_b64 s[6:7], -1
	s_and_b64 s[28:29], s[28:29], s[4:5]
	v_mov_b32_e32 v1, v0
	s_and_saveexec_b64 s[4:5], s[28:29]
	s_cbranch_execz .LBB12_13
; %bb.5:
	v_add_u32_e32 v2, -1, v5
	v_or_b32_e32 v1, 0x100, v0
	v_lshrrev_b32_e32 v3, 1, v2
	s_mov_b32 s33, 0
	v_add_u32_e32 v6, 1, v3
	v_cmp_lt_u32_e32 vcc, 5, v2
	v_mov_b32_e32 v9, 0
	v_mov_b64_e32 v[2:3], v[0:1]
	s_and_saveexec_b64 s[6:7], vcc
	s_cbranch_execz .LBB12_9
; %bb.6:
	v_and_b32_e32 v7, -4, v6
	v_lshlrev_b32_e32 v8, 2, v0
	s_mov_b64 s[28:29], 0
	v_mov_b64_e32 v[2:3], v[0:1]
.LBB12_7:                               ; =>This Inner Loop Header: Depth=1
	v_mul_lo_u32 v9, v2, s21
	v_mul_lo_u32 v1, v3, s21
	v_add_u32_e32 v10, s30, v9
	v_add_u32_e32 v12, s30, v1
	v_ashrrev_i32_e32 v11, 31, v10
	v_ashrrev_i32_e32 v13, 31, v12
	v_lshl_add_u64 v[10:11], v[10:11], 2, s[24:25]
	v_lshl_add_u64 v[12:13], v[12:13], 2, s[24:25]
	flat_load_dword v1, v[10:11]
	flat_load_dword v9, v[12:13]
	v_add_u32_e32 v10, 0x200, v2
	v_add_u32_e32 v11, 0x200, v3
	v_mul_lo_u32 v10, v10, s21
	v_mul_lo_u32 v11, v11, s21
	v_add_u32_e32 v10, s30, v10
	v_add_u32_e32 v12, s30, v11
	v_ashrrev_i32_e32 v11, 31, v10
	v_ashrrev_i32_e32 v13, 31, v12
	v_lshl_add_u64 v[10:11], v[10:11], 2, s[24:25]
	v_lshl_add_u64 v[12:13], v[12:13], 2, s[24:25]
	v_add_u32_e32 v7, -4, v7
	s_add_i32 s33, s33, 8
	v_cmp_eq_u32_e32 vcc, 0, v7
	s_or_b64 s[28:29], vcc, s[28:29]
	s_waitcnt vmcnt(0) lgkmcnt(0)
	ds_write2st64_b32 v8, v1, v9 offset1:4
	flat_load_dword v1, v[10:11]
	flat_load_dword v9, v[12:13]
	v_add_u32_e32 v10, 0x400, v2
	v_add_u32_e32 v11, 0x400, v3
	v_mul_lo_u32 v10, v10, s21
	v_mul_lo_u32 v11, v11, s21
	v_add_u32_e32 v10, s30, v10
	v_add_u32_e32 v12, s30, v11
	v_ashrrev_i32_e32 v11, 31, v10
	v_ashrrev_i32_e32 v13, 31, v12
	v_lshl_add_u64 v[10:11], v[10:11], 2, s[24:25]
	v_lshl_add_u64 v[12:13], v[12:13], 2, s[24:25]
	s_waitcnt vmcnt(0) lgkmcnt(0)
	ds_write2st64_b32 v8, v1, v9 offset0:8 offset1:12
	flat_load_dword v1, v[10:11]
	flat_load_dword v9, v[12:13]
	v_add_u32_e32 v10, 0x600, v2
	v_add_u32_e32 v11, 0x600, v3
	v_mul_lo_u32 v10, v10, s21
	v_mul_lo_u32 v11, v11, s21
	v_add_u32_e32 v10, s30, v10
	v_add_u32_e32 v12, s30, v11
	v_ashrrev_i32_e32 v11, 31, v10
	v_ashrrev_i32_e32 v13, 31, v12
	v_lshl_add_u64 v[10:11], v[10:11], 2, s[24:25]
	v_lshl_add_u64 v[12:13], v[12:13], 2, s[24:25]
	v_add_u32_e32 v3, 0x800, v3
	v_add_u32_e32 v2, 0x800, v2
	s_waitcnt vmcnt(0) lgkmcnt(0)
	ds_write2st64_b32 v8, v1, v9 offset0:16 offset1:20
	flat_load_dword v1, v[10:11]
	flat_load_dword v14, v[12:13]
	v_mov_b32_e32 v9, s33
	s_waitcnt vmcnt(0) lgkmcnt(0)
	ds_write2st64_b32 v8, v1, v14 offset0:24 offset1:28
	v_add_u32_e32 v8, 0x2000, v8
	s_andn2_b64 exec, exec, s[28:29]
	s_cbranch_execnz .LBB12_7
; %bb.8:
	s_or_b64 exec, exec, s[28:29]
.LBB12_9:
	s_or_b64 exec, exec, s[6:7]
	v_and_b32_e32 v1, 3, v6
	v_cmp_ne_u32_e32 vcc, 0, v1
	s_and_saveexec_b64 s[6:7], vcc
	s_cbranch_execz .LBB12_12
; %bb.10:
	v_lshlrev_b32_e32 v6, 2, v0
	v_lshl_or_b32 v6, v9, 10, v6
	s_mov_b64 s[28:29], 0
.LBB12_11:                              ; =>This Inner Loop Header: Depth=1
	v_mul_lo_u32 v8, v2, s21
	v_mul_lo_u32 v7, v3, s21
	v_add_u32_e32 v8, s30, v8
	v_add_u32_e32 v10, s30, v7
	v_ashrrev_i32_e32 v9, 31, v8
	v_ashrrev_i32_e32 v11, 31, v10
	v_lshl_add_u64 v[8:9], v[8:9], 2, s[24:25]
	v_lshl_add_u64 v[10:11], v[10:11], 2, s[24:25]
	flat_load_dword v7, v[8:9]
	flat_load_dword v12, v[10:11]
	v_add_u32_e32 v1, -1, v1
	v_cmp_eq_u32_e32 vcc, 0, v1
	v_add_u32_e32 v3, 0x200, v3
	v_add_u32_e32 v2, 0x200, v2
	s_or_b64 s[28:29], vcc, s[28:29]
	s_waitcnt vmcnt(0) lgkmcnt(0)
	ds_write2st64_b32 v6, v7, v12 offset1:4
	v_add_u32_e32 v6, 0x800, v6
	s_andn2_b64 exec, exec, s[28:29]
	s_cbranch_execnz .LBB12_11
.LBB12_12:
	s_or_b64 exec, exec, s[6:7]
	v_add_u32_e32 v2, 1, v5
	v_and_b32_e32 v3, 0x1fffffe, v2
	v_cmp_ne_u32_e32 vcc, v2, v3
	v_lshl_or_b32 v1, v3, 8, v0
	s_orn2_b64 s[6:7], vcc, exec
.LBB12_13:
	s_or_b64 exec, exec, s[4:5]
	v_mov_b32_e32 v5, s31
	s_and_b64 s[4:5], s[6:7], exec
	s_andn2_saveexec_b64 s[6:7], s[26:27]
	s_cbranch_execz .LBB12_3
.LBB12_14:
	s_lshl_b32 s26, s21, 8
	v_mov_b32_e32 v5, s26
	s_or_b64 s[4:5], s[4:5], exec
	v_mov_b32_e32 v1, v0
	s_or_b64 exec, exec, s[6:7]
	s_and_b64 exec, exec, s[4:5]
	s_cbranch_execz .LBB12_17
.LBB12_15:
	v_mul_lo_u32 v2, v1, s21
	v_add_u32_e32 v2, s30, v2
	v_lshlrev_b32_e32 v6, 2, v1
	s_mov_b64 s[4:5], 0
.LBB12_16:                              ; =>This Inner Loop Header: Depth=1
	v_ashrrev_i32_e32 v3, 31, v2
	v_lshl_add_u64 v[8:9], v[2:3], 2, s[24:25]
	flat_load_dword v3, v[8:9]
	v_add_u32_e32 v1, 0x100, v1
	v_cmp_le_i32_e32 vcc, s22, v1
	v_add_u32_e32 v2, v2, v5
	s_or_b64 s[4:5], vcc, s[4:5]
	s_waitcnt vmcnt(0) lgkmcnt(0)
	ds_write_b32 v6, v3
	v_add_u32_e32 v6, 0x400, v6
	s_andn2_b64 exec, exec, s[4:5]
	s_cbranch_execnz .LBB12_16
.LBB12_17:
	s_or_b64 exec, exec, s[16:17]
	s_cmp_ge_i32 s20, s23
	s_waitcnt lgkmcnt(0)
	s_barrier
	s_cbranch_scc1 .LBB12_55
; %bb.18:
	s_load_dword s21, s[0:1], 0x48
	s_lshl_b64 s[0:1], s[14:15], 2
	s_add_u32 s0, s12, s0
	s_mul_i32 s3, s10, s3
	s_mul_hi_u32 s4, s10, s2
	s_addc_u32 s1, s13, s1
	s_add_i32 s3, s4, s3
	s_mul_i32 s4, s11, s2
	s_add_i32 s3, s3, s4
	s_mul_i32 s2, s10, s2
	s_lshl_b64 s[2:3], s[2:3], 2
	s_add_u32 s24, s8, s2
	v_and_b32_e32 v1, 63, v0
	s_addc_u32 s25, s9, s3
	v_cmp_eq_u32_e64 s[2:3], 0, v1
	v_lshrrev_b32_e32 v1, 8, v4
	v_add_u32_e32 v3, -1, v1
	v_add_u32_e32 v2, 1, v1
	v_lshrrev_b32_e32 v1, 1, v3
	s_movk_i32 s8, 0x6ff
	s_movk_i32 s10, 0xff
	s_cmp_gt_i32 s22, 1
	v_add_u32_e32 v5, 1, v1
	v_cmp_lt_u32_e64 s[8:9], s8, v4
	v_cmp_lt_u32_e64 s[10:11], s10, v4
	v_and_b32_e32 v4, 0x1fffffe, v2
	s_cselect_b64 s[26:27], -1, 0
	v_lshl_or_b32 v15, v4, 8, v0
	v_and_b32_e32 v16, 3, v5
	v_and_b32_e32 v17, -4, v5
	v_cmp_ne_u32_e64 s[16:17], v2, v4
	v_mov_b32_e32 v5, 0
	s_waitcnt lgkmcnt(0)
	s_lshl_b32 s33, s21, 6
	v_mbcnt_lo_u32_b32 v4, -1, 0
	v_and_b32_e32 v8, 7, v2
	v_cmp_lt_u32_e64 s[12:13], 5, v3
	v_lshlrev_b32_e32 v2, 2, v0
	v_mov_b32_e32 v3, v5
	s_add_u32 s46, s0, 0x1000
	v_mbcnt_hi_u32_b32 v19, -1, v4
	v_mov_b32_e32 v4, 0x80
	v_lshrrev_b32_e32 v14, 4, v0
	v_cmp_eq_u32_e64 s[4:5], 0, v0
	v_cmp_ne_u32_e64 s[6:7], 0, v8
	v_or_b32_e32 v1, 0x100, v0
	v_cmp_ne_u32_e64 s[14:15], 0, v16
	v_lshl_add_u64 v[6:7], s[0:1], 0, v[2:3]
	s_mul_i32 s28, s20, s21
	v_lshlrev_b32_e32 v3, 2, v8
	s_addc_u32 s47, s1, 0
	s_mov_b64 s[30:31], 0x400
	s_mov_b64 s[34:35], 0x2000
	v_mov_b32_e32 v18, 0x2004
	v_and_b32_e32 v20, 63, v19
	v_lshl_or_b32 v21, v19, 2, v4
	s_branch .LBB12_20
.LBB12_19:                              ;   in Loop: Header=BB12_20 Depth=1
	s_or_b64 exec, exec, s[38:39]
	s_add_i32 s20, s20, 64
	s_add_i32 s28, s28, s33
	s_cmp_ge_i32 s20, s23
	s_cbranch_scc1 .LBB12_55
.LBB12_20:                              ; =>This Loop Header: Depth=1
                                        ;     Child Loop BB12_23 Depth 2
                                        ;     Child Loop BB12_27 Depth 2
                                        ;     Child Loop BB12_44 Depth 2
                                        ;     Child Loop BB12_48 Depth 2
                                        ;     Child Loop BB12_54 Depth 2
	s_ashr_i32 s29, s28, 31
	s_lshl_b64 s[36:37], s[28:29], 2
	v_mov_b32_e32 v10, 0
	s_and_saveexec_b64 s[38:39], s[18:19]
	s_cbranch_execz .LBB12_30
; %bb.21:                               ;   in Loop: Header=BB12_20 Depth=1
	v_mov_b32_e32 v10, 0
	v_mov_b32_e32 v4, v0
	s_and_saveexec_b64 s[40:41], s[6:7]
	s_cbranch_execz .LBB12_25
; %bb.22:                               ;   in Loop: Header=BB12_20 Depth=1
	v_lshl_add_u64 v[8:9], v[6:7], 0, s[36:37]
	v_mov_b32_e32 v10, 0
	s_mov_b64 s[42:43], 0
	v_mov_b32_e32 v11, v3
	v_mov_b32_e32 v12, v2
	;; [unrolled: 1-line block ×3, first 2 shown]
.LBB12_23:                              ;   Parent Loop BB12_20 Depth=1
                                        ; =>  This Inner Loop Header: Depth=2
	flat_load_dword v13, v[8:9]
	ds_read_b32 v22, v12
	v_add_u32_e32 v11, -4, v11
	v_cmp_eq_u32_e32 vcc, 0, v11
	v_add_u32_e32 v4, 0x100, v4
	v_add_u32_e32 v12, 0x400, v12
	v_lshl_add_u64 v[8:9], v[8:9], 0, s[30:31]
	s_or_b64 s[42:43], vcc, s[42:43]
	s_waitcnt vmcnt(0) lgkmcnt(0)
	v_fmac_f32_e32 v10, v22, v13
	s_andn2_b64 exec, exec, s[42:43]
	s_cbranch_execnz .LBB12_23
; %bb.24:                               ;   in Loop: Header=BB12_20 Depth=1
	s_or_b64 exec, exec, s[42:43]
.LBB12_25:                              ;   in Loop: Header=BB12_20 Depth=1
	s_or_b64 exec, exec, s[40:41]
	s_and_saveexec_b64 s[40:41], s[8:9]
	s_cbranch_execz .LBB12_29
; %bb.26:                               ;   in Loop: Header=BB12_20 Depth=1
	s_add_u32 s42, s46, s36
	s_addc_u32 s43, s47, s37
	v_lshl_add_u64 v[8:9], v[4:5], 2, s[42:43]
	v_lshlrev_b32_e32 v11, 2, v4
	s_mov_b64 s[42:43], 0
.LBB12_27:                              ;   Parent Loop BB12_20 Depth=1
                                        ; =>  This Inner Loop Header: Depth=2
	v_add_co_u32_e32 v12, vcc, 0xfffff000, v8
	v_add_u32_e32 v4, 0x800, v4
	s_nop 0
	v_addc_co_u32_e32 v13, vcc, -1, v9, vcc
	v_add_co_u32_e32 v22, vcc, 0xfffff400, v8
	s_nop 1
	v_addc_co_u32_e32 v23, vcc, -1, v9, vcc
	flat_load_dword v28, v[12:13]
	flat_load_dword v29, v[22:23]
	v_add_co_u32_e32 v24, vcc, 0xfffff800, v8
	s_nop 1
	v_addc_co_u32_e32 v25, vcc, -1, v9, vcc
	v_add_co_u32_e32 v12, vcc, 0xfffffc00, v8
	s_nop 1
	v_addc_co_u32_e32 v13, vcc, -1, v9, vcc
	flat_load_dword v30, v[24:25]
	flat_load_dword v31, v[12:13]
	;; [unrolled: 1-line block ×3, first 2 shown]
	flat_load_dword v33, v[8:9] offset:1024
	flat_load_dword v34, v[8:9] offset:2048
	flat_load_dword v35, v[8:9] offset:3072
	ds_read2st64_b32 v[12:13], v11 offset1:4
	ds_read2st64_b32 v[22:23], v11 offset0:8 offset1:12
	ds_read2st64_b32 v[24:25], v11 offset0:16 offset1:20
	;; [unrolled: 1-line block ×3, first 2 shown]
	v_cmp_le_i32_e32 vcc, s22, v4
	v_add_u32_e32 v11, 0x2000, v11
	s_or_b64 s[42:43], vcc, s[42:43]
	v_lshl_add_u64 v[8:9], v[8:9], 0, s[34:35]
	s_waitcnt vmcnt(0) lgkmcnt(0)
	v_fmac_f32_e32 v10, v12, v28
	v_fmac_f32_e32 v10, v13, v29
	;; [unrolled: 1-line block ×8, first 2 shown]
	s_andn2_b64 exec, exec, s[42:43]
	s_cbranch_execnz .LBB12_27
; %bb.28:                               ;   in Loop: Header=BB12_20 Depth=1
	s_or_b64 exec, exec, s[42:43]
.LBB12_29:                              ;   in Loop: Header=BB12_20 Depth=1
	s_or_b64 exec, exec, s[40:41]
.LBB12_30:                              ;   in Loop: Header=BB12_20 Depth=1
	s_or_b64 exec, exec, s[38:39]
	s_and_b64 vcc, exec, s[26:27]
	s_cbranch_vccz .LBB12_37
; %bb.31:                               ;   in Loop: Header=BB12_20 Depth=1
	v_cmp_ne_u32_e32 vcc, 63, v20
	s_nop 1
	v_addc_co_u32_e32 v4, vcc, 0, v19, vcc
	v_lshlrev_b32_e32 v4, 2, v4
	ds_bpermute_b32 v4, v4, v10
	v_cmp_gt_u32_e32 vcc, 62, v20
	s_waitcnt lgkmcnt(0)
	v_add_f32_e32 v4, v10, v4
	v_cndmask_b32_e64 v8, 0, 2, vcc
	v_add_lshl_u32 v8, v8, v19, 2
	ds_bpermute_b32 v8, v8, v4
	v_cmp_gt_u32_e32 vcc, 60, v20
	s_waitcnt lgkmcnt(0)
	v_add_f32_e32 v4, v4, v8
	v_cndmask_b32_e64 v9, 0, 4, vcc
	v_add_lshl_u32 v9, v9, v19, 2
	;; [unrolled: 6-line block ×4, first 2 shown]
	ds_bpermute_b32 v8, v8, v4
	s_waitcnt lgkmcnt(0)
	v_add_f32_e32 v4, v4, v8
	ds_bpermute_b32 v8, v21, v4
	s_waitcnt lgkmcnt(0)
	v_add_f32_e32 v8, v4, v8
	s_and_saveexec_b64 s[38:39], s[2:3]
; %bb.32:                               ;   in Loop: Header=BB12_20 Depth=1
	ds_write_b32 v14, v8 offset:8192
; %bb.33:                               ;   in Loop: Header=BB12_20 Depth=1
	s_or_b64 exec, exec, s[38:39]
	s_mov_b64 s[40:41], 0
	s_mov_b64 s[38:39], 0
	s_waitcnt lgkmcnt(0)
	s_barrier
                                        ; implicit-def: $vgpr4
	s_and_saveexec_b64 s[42:43], s[4:5]
	s_xor_b64 s[42:43], exec, s[42:43]
	s_cbranch_execz .LBB12_35
; %bb.34:                               ;   in Loop: Header=BB12_20 Depth=1
	ds_read2_b32 v[12:13], v18 offset1:1
	ds_read_b32 v4, v5 offset:8204
	s_mov_b64 s[38:39], exec
	s_waitcnt lgkmcnt(0)
	v_add_f32_e32 v8, v8, v12
	v_add_f32_e32 v8, v8, v13
	s_waitcnt lgkmcnt(0)
	v_add_f32_e32 v4, v8, v4
.LBB12_35:                              ;   in Loop: Header=BB12_20 Depth=1
	s_or_b64 exec, exec, s[42:43]
	s_and_b64 vcc, exec, s[40:41]
	s_cbranch_vccnz .LBB12_38
.LBB12_36:                              ;   in Loop: Header=BB12_20 Depth=1
	v_mov_b32_e32 v10, v4
	s_and_saveexec_b64 s[40:41], s[38:39]
	s_cbranch_execnz .LBB12_39
	s_branch .LBB12_40
.LBB12_37:                              ;   in Loop: Header=BB12_20 Depth=1
	s_mov_b64 s[38:39], 0
                                        ; implicit-def: $vgpr4
	s_cbranch_execz .LBB12_36
.LBB12_38:                              ;   in Loop: Header=BB12_20 Depth=1
	s_andn2_b64 s[38:39], s[38:39], exec
	s_and_b64 s[40:41], s[4:5], exec
	s_or_b64 s[38:39], s[38:39], s[40:41]
	s_and_saveexec_b64 s[40:41], s[38:39]
.LBB12_39:                              ;   in Loop: Header=BB12_20 Depth=1
	ds_write_b32 v5, v10 offset:8192
.LBB12_40:                              ;   in Loop: Header=BB12_20 Depth=1
	s_or_b64 exec, exec, s[40:41]
	s_waitcnt lgkmcnt(0)
	s_barrier
	s_and_saveexec_b64 s[38:39], s[18:19]
	s_cbranch_execz .LBB12_19
; %bb.41:                               ;   in Loop: Header=BB12_20 Depth=1
	global_load_dword v4, v5, s[24:25]
	ds_read_b32 v8, v5 offset:8192
	s_mov_b64 s[42:43], -1
	v_mov_b32_e32 v10, v0
	s_waitcnt vmcnt(0) lgkmcnt(0)
	v_mul_f32_e64 v8, v8, -v4
	v_mov_b32_e32 v4, v2
	s_and_saveexec_b64 s[40:41], s[10:11]
	s_cbranch_execz .LBB12_52
; %bb.42:                               ;   in Loop: Header=BB12_20 Depth=1
	s_mul_i32 s29, s20, s21
	v_mov_b32_e32 v9, v8
	v_mov_b32_e32 v13, 0
	v_mov_b64_e32 v[10:11], v[0:1]
	s_and_saveexec_b64 s[42:43], s[12:13]
	s_cbranch_execz .LBB12_46
; %bb.43:                               ;   in Loop: Header=BB12_20 Depth=1
	s_add_i32 s48, s29, 0x200
	s_add_i32 s50, s29, 0x400
	;; [unrolled: 1-line block ×3, first 2 shown]
	s_mov_b32 s49, s48
	s_mov_b32 s51, s50
	;; [unrolled: 1-line block ×4, first 2 shown]
	s_mov_b64 s[44:45], 0
	v_mov_b32_e32 v4, v17
	v_mov_b32_e32 v12, v2
	v_mov_b64_e32 v[10:11], v[0:1]
.LBB12_44:                              ;   Parent Loop BB12_20 Depth=1
                                        ; =>  This Inner Loop Header: Depth=2
	v_add_u32_e32 v22, s29, v10
	v_add_u32_e32 v24, s29, v11
	v_ashrrev_i32_e32 v23, 31, v22
	v_ashrrev_i32_e32 v25, 31, v24
	v_lshl_add_u64 v[22:23], v[22:23], 2, s[0:1]
	v_lshl_add_u64 v[24:25], v[24:25], 2, s[0:1]
	flat_load_dword v26, v[22:23]
	flat_load_dword v27, v[24:25]
	ds_read2st64_b32 v[28:29], v12 offset1:4
	v_add_u32_e32 v30, s48, v10
	v_add_u32_e32 v32, s49, v11
	v_ashrrev_i32_e32 v31, 31, v30
	v_ashrrev_i32_e32 v33, 31, v32
	v_lshl_add_u64 v[30:31], v[30:31], 2, s[0:1]
	v_lshl_add_u64 v[32:33], v[32:33], 2, s[0:1]
	v_add_u32_e32 v4, -4, v4
	s_add_i32 s54, s54, 8
	v_cmp_eq_u32_e32 vcc, 0, v4
	v_mov_b32_e32 v13, s54
	s_or_b64 s[44:45], vcc, s[44:45]
	s_waitcnt vmcnt(0) lgkmcnt(0)
	v_pk_fma_f32 v[26:27], v[8:9], v[28:29], v[26:27]
	flat_store_dword v[22:23], v26
	flat_store_dword v[24:25], v27
	flat_load_dword v22, v[30:31]
	s_nop 0
	flat_load_dword v23, v[32:33]
	ds_read2st64_b32 v[28:29], v12 offset0:8 offset1:12
	v_add_u32_e32 v24, s50, v10
	v_add_u32_e32 v26, s51, v11
	v_ashrrev_i32_e32 v25, 31, v24
	v_ashrrev_i32_e32 v27, 31, v26
	v_lshl_add_u64 v[24:25], v[24:25], 2, s[0:1]
	v_lshl_add_u64 v[26:27], v[26:27], 2, s[0:1]
	s_waitcnt vmcnt(0) lgkmcnt(0)
	v_pk_fma_f32 v[22:23], v[8:9], v[28:29], v[22:23]
	flat_store_dword v[30:31], v22
	flat_store_dword v[32:33], v23
	flat_load_dword v22, v[24:25]
	s_nop 0
	flat_load_dword v23, v[26:27]
	ds_read2st64_b32 v[32:33], v12 offset0:16 offset1:20
	v_add_u32_e32 v28, s52, v10
	v_add_u32_e32 v30, s53, v11
	v_ashrrev_i32_e32 v29, 31, v28
	v_ashrrev_i32_e32 v31, 31, v30
	v_lshl_add_u64 v[28:29], v[28:29], 2, s[0:1]
	v_lshl_add_u64 v[30:31], v[30:31], 2, s[0:1]
	v_add_u32_e32 v11, 0x800, v11
	v_add_u32_e32 v10, 0x800, v10
	s_waitcnt vmcnt(0) lgkmcnt(0)
	v_pk_fma_f32 v[22:23], v[8:9], v[32:33], v[22:23]
	flat_store_dword v[24:25], v22
	flat_store_dword v[26:27], v23
	flat_load_dword v22, v[28:29]
	s_nop 0
	flat_load_dword v23, v[30:31]
	ds_read2st64_b32 v[24:25], v12 offset0:24 offset1:28
	v_add_u32_e32 v12, 0x2000, v12
	s_waitcnt vmcnt(0) lgkmcnt(0)
	v_pk_fma_f32 v[22:23], v[8:9], v[24:25], v[22:23]
	flat_store_dword v[28:29], v22
	flat_store_dword v[30:31], v23
	s_andn2_b64 exec, exec, s[44:45]
	s_cbranch_execnz .LBB12_44
; %bb.45:                               ;   in Loop: Header=BB12_20 Depth=1
	s_or_b64 exec, exec, s[44:45]
.LBB12_46:                              ;   in Loop: Header=BB12_20 Depth=1
	s_or_b64 exec, exec, s[42:43]
	s_and_saveexec_b64 s[42:43], s[14:15]
	s_cbranch_execz .LBB12_49
; %bb.47:                               ;   in Loop: Header=BB12_20 Depth=1
	v_lshl_or_b32 v4, v13, 10, v2
	s_mov_b64 s[44:45], 0
	v_mov_b32_e32 v12, v16
.LBB12_48:                              ;   Parent Loop BB12_20 Depth=1
                                        ; =>  This Inner Loop Header: Depth=2
	v_add_u32_e32 v22, s29, v10
	v_add_u32_e32 v24, s29, v11
	v_ashrrev_i32_e32 v23, 31, v22
	v_ashrrev_i32_e32 v25, 31, v24
	v_lshl_add_u64 v[22:23], v[22:23], 2, s[0:1]
	v_lshl_add_u64 v[24:25], v[24:25], 2, s[0:1]
	flat_load_dword v26, v[22:23]
	flat_load_dword v27, v[24:25]
	ds_read2st64_b32 v[28:29], v4 offset1:4
	v_add_u32_e32 v12, -1, v12
	v_cmp_eq_u32_e32 vcc, 0, v12
	v_add_u32_e32 v11, 0x200, v11
	v_add_u32_e32 v10, 0x200, v10
	;; [unrolled: 1-line block ×3, first 2 shown]
	s_or_b64 s[44:45], vcc, s[44:45]
	s_waitcnt vmcnt(0) lgkmcnt(0)
	v_pk_fma_f32 v[26:27], v[8:9], v[28:29], v[26:27]
	flat_store_dword v[22:23], v26
	flat_store_dword v[24:25], v27
	s_andn2_b64 exec, exec, s[44:45]
	s_cbranch_execnz .LBB12_48
.LBB12_49:                              ;   in Loop: Header=BB12_20 Depth=1
	s_or_b64 exec, exec, s[42:43]
	s_mov_b64 s[42:43], 0
                                        ; implicit-def: $vgpr4
	s_and_saveexec_b64 s[44:45], s[16:17]
; %bb.50:                               ;   in Loop: Header=BB12_20 Depth=1
	s_mov_b64 s[42:43], exec
	v_lshlrev_b32_e32 v4, 2, v15
; %bb.51:                               ;   in Loop: Header=BB12_20 Depth=1
	s_or_b64 exec, exec, s[44:45]
	s_orn2_b64 s[42:43], s[42:43], exec
	v_mov_b32_e32 v10, v15
.LBB12_52:                              ;   in Loop: Header=BB12_20 Depth=1
	s_or_b64 exec, exec, s[40:41]
	s_and_b64 exec, exec, s[42:43]
	s_cbranch_execz .LBB12_19
; %bb.53:                               ;   in Loop: Header=BB12_20 Depth=1
	s_add_u32 s36, s0, s36
	v_ashrrev_i32_e32 v11, 31, v10
	s_addc_u32 s37, s1, s37
	v_lshl_add_u64 v[12:13], v[10:11], 2, s[36:37]
	s_mov_b64 s[36:37], 0
.LBB12_54:                              ;   Parent Loop BB12_20 Depth=1
                                        ; =>  This Inner Loop Header: Depth=2
	flat_load_dword v9, v[12:13]
	ds_read_b32 v11, v4
	v_add_u32_e32 v10, 0x100, v10
	v_cmp_le_i32_e32 vcc, s22, v10
	s_or_b64 s[36:37], vcc, s[36:37]
	v_add_u32_e32 v4, 0x400, v4
	s_waitcnt vmcnt(0) lgkmcnt(0)
	v_fmac_f32_e32 v9, v8, v11
	flat_store_dword v[12:13], v9
	v_lshl_add_u64 v[12:13], v[12:13], 0, s[30:31]
	s_andn2_b64 exec, exec, s[36:37]
	s_cbranch_execnz .LBB12_54
	s_branch .LBB12_19
.LBB12_55:
	s_endpgm
	.section	.rodata,"a",@progbits
	.p2align	6, 0x0
	.amdhsa_kernel _ZN9rocsolver6v33100L22larf_left_kernel_smallILi256EfiPKPfEEvT1_S5_T2_lS5_lPKT0_lS6_lS5_l
		.amdhsa_group_segment_fixed_size 9216
		.amdhsa_private_segment_fixed_size 0
		.amdhsa_kernarg_size 88
		.amdhsa_user_sgpr_count 2
		.amdhsa_user_sgpr_dispatch_ptr 0
		.amdhsa_user_sgpr_queue_ptr 0
		.amdhsa_user_sgpr_kernarg_segment_ptr 1
		.amdhsa_user_sgpr_dispatch_id 0
		.amdhsa_user_sgpr_kernarg_preload_length 0
		.amdhsa_user_sgpr_kernarg_preload_offset 0
		.amdhsa_user_sgpr_private_segment_size 0
		.amdhsa_uses_dynamic_stack 0
		.amdhsa_enable_private_segment 0
		.amdhsa_system_sgpr_workgroup_id_x 1
		.amdhsa_system_sgpr_workgroup_id_y 1
		.amdhsa_system_sgpr_workgroup_id_z 0
		.amdhsa_system_sgpr_workgroup_info 0
		.amdhsa_system_vgpr_workitem_id 0
		.amdhsa_next_free_vgpr 36
		.amdhsa_next_free_sgpr 55
		.amdhsa_accum_offset 36
		.amdhsa_reserve_vcc 1
		.amdhsa_float_round_mode_32 0
		.amdhsa_float_round_mode_16_64 0
		.amdhsa_float_denorm_mode_32 3
		.amdhsa_float_denorm_mode_16_64 3
		.amdhsa_dx10_clamp 1
		.amdhsa_ieee_mode 1
		.amdhsa_fp16_overflow 0
		.amdhsa_tg_split 0
		.amdhsa_exception_fp_ieee_invalid_op 0
		.amdhsa_exception_fp_denorm_src 0
		.amdhsa_exception_fp_ieee_div_zero 0
		.amdhsa_exception_fp_ieee_overflow 0
		.amdhsa_exception_fp_ieee_underflow 0
		.amdhsa_exception_fp_ieee_inexact 0
		.amdhsa_exception_int_div_zero 0
	.end_amdhsa_kernel
	.section	.text._ZN9rocsolver6v33100L22larf_left_kernel_smallILi256EfiPKPfEEvT1_S5_T2_lS5_lPKT0_lS6_lS5_l,"axG",@progbits,_ZN9rocsolver6v33100L22larf_left_kernel_smallILi256EfiPKPfEEvT1_S5_T2_lS5_lPKT0_lS6_lS5_l,comdat
.Lfunc_end12:
	.size	_ZN9rocsolver6v33100L22larf_left_kernel_smallILi256EfiPKPfEEvT1_S5_T2_lS5_lPKT0_lS6_lS5_l, .Lfunc_end12-_ZN9rocsolver6v33100L22larf_left_kernel_smallILi256EfiPKPfEEvT1_S5_T2_lS5_lPKT0_lS6_lS5_l
                                        ; -- End function
	.set _ZN9rocsolver6v33100L22larf_left_kernel_smallILi256EfiPKPfEEvT1_S5_T2_lS5_lPKT0_lS6_lS5_l.num_vgpr, 36
	.set _ZN9rocsolver6v33100L22larf_left_kernel_smallILi256EfiPKPfEEvT1_S5_T2_lS5_lPKT0_lS6_lS5_l.num_agpr, 0
	.set _ZN9rocsolver6v33100L22larf_left_kernel_smallILi256EfiPKPfEEvT1_S5_T2_lS5_lPKT0_lS6_lS5_l.numbered_sgpr, 55
	.set _ZN9rocsolver6v33100L22larf_left_kernel_smallILi256EfiPKPfEEvT1_S5_T2_lS5_lPKT0_lS6_lS5_l.num_named_barrier, 0
	.set _ZN9rocsolver6v33100L22larf_left_kernel_smallILi256EfiPKPfEEvT1_S5_T2_lS5_lPKT0_lS6_lS5_l.private_seg_size, 0
	.set _ZN9rocsolver6v33100L22larf_left_kernel_smallILi256EfiPKPfEEvT1_S5_T2_lS5_lPKT0_lS6_lS5_l.uses_vcc, 1
	.set _ZN9rocsolver6v33100L22larf_left_kernel_smallILi256EfiPKPfEEvT1_S5_T2_lS5_lPKT0_lS6_lS5_l.uses_flat_scratch, 0
	.set _ZN9rocsolver6v33100L22larf_left_kernel_smallILi256EfiPKPfEEvT1_S5_T2_lS5_lPKT0_lS6_lS5_l.has_dyn_sized_stack, 0
	.set _ZN9rocsolver6v33100L22larf_left_kernel_smallILi256EfiPKPfEEvT1_S5_T2_lS5_lPKT0_lS6_lS5_l.has_recursion, 0
	.set _ZN9rocsolver6v33100L22larf_left_kernel_smallILi256EfiPKPfEEvT1_S5_T2_lS5_lPKT0_lS6_lS5_l.has_indirect_call, 0
	.section	.AMDGPU.csdata,"",@progbits
; Kernel info:
; codeLenInByte = 3100
; TotalNumSgprs: 61
; NumVgprs: 36
; NumAgprs: 0
; TotalNumVgprs: 36
; ScratchSize: 0
; MemoryBound: 0
; FloatMode: 240
; IeeeMode: 1
; LDSByteSize: 9216 bytes/workgroup (compile time only)
; SGPRBlocks: 7
; VGPRBlocks: 4
; NumSGPRsForWavesPerEU: 61
; NumVGPRsForWavesPerEU: 36
; AccumOffset: 36
; Occupancy: 8
; WaveLimiterHint : 1
; COMPUTE_PGM_RSRC2:SCRATCH_EN: 0
; COMPUTE_PGM_RSRC2:USER_SGPR: 2
; COMPUTE_PGM_RSRC2:TRAP_HANDLER: 0
; COMPUTE_PGM_RSRC2:TGID_X_EN: 1
; COMPUTE_PGM_RSRC2:TGID_Y_EN: 1
; COMPUTE_PGM_RSRC2:TGID_Z_EN: 0
; COMPUTE_PGM_RSRC2:TIDIG_COMP_CNT: 0
; COMPUTE_PGM_RSRC3_GFX90A:ACCUM_OFFSET: 8
; COMPUTE_PGM_RSRC3_GFX90A:TG_SPLIT: 0
	.section	.text._ZN9rocsolver6v33100L22larf_left_kernel_smallILi512EfiPKPfEEvT1_S5_T2_lS5_lPKT0_lS6_lS5_l,"axG",@progbits,_ZN9rocsolver6v33100L22larf_left_kernel_smallILi512EfiPKPfEEvT1_S5_T2_lS5_lPKT0_lS6_lS5_l,comdat
	.globl	_ZN9rocsolver6v33100L22larf_left_kernel_smallILi512EfiPKPfEEvT1_S5_T2_lS5_lPKT0_lS6_lS5_l ; -- Begin function _ZN9rocsolver6v33100L22larf_left_kernel_smallILi512EfiPKPfEEvT1_S5_T2_lS5_lPKT0_lS6_lS5_l
	.p2align	8
	.type	_ZN9rocsolver6v33100L22larf_left_kernel_smallILi512EfiPKPfEEvT1_S5_T2_lS5_lPKT0_lS6_lS5_l,@function
_ZN9rocsolver6v33100L22larf_left_kernel_smallILi512EfiPKPfEEvT1_S5_T2_lS5_lPKT0_lS6_lS5_l: ; @_ZN9rocsolver6v33100L22larf_left_kernel_smallILi512EfiPKPfEEvT1_S5_T2_lS5_lPKT0_lS6_lS5_l
; %bb.0:
	s_load_dwordx8 s[8:15], s[0:1], 0x28
	s_load_dwordx2 s[22:23], s[0:1], 0x0
	s_mov_b32 s20, s3
	s_ashr_i32 s3, s2, 31
	s_lshl_b64 s[4:5], s[2:3], 3
	s_waitcnt lgkmcnt(0)
	s_add_u32 s6, s12, s4
	s_addc_u32 s7, s13, s5
	s_load_dwordx2 s[12:13], s[6:7], 0x0
	v_cmp_gt_i32_e64 s[18:19], s22, v0
	v_xad_u32 v4, v0, -1, s22
	s_and_saveexec_b64 s[16:17], s[18:19]
	s_cbranch_execz .LBB13_17
; %bb.1:
	s_load_dwordx4 s[24:27], s[0:1], 0x8
	s_load_dword s21, s[0:1], 0x18
	s_movk_i32 s6, 0x2dff
	v_cmp_lt_u32_e32 vcc, s6, v4
                                        ; implicit-def: $vgpr1
                                        ; implicit-def: $vgpr5
	s_waitcnt lgkmcnt(0)
	s_add_u32 s4, s24, s4
	s_addc_u32 s5, s25, s5
	s_load_dwordx2 s[4:5], s[4:5], 0x0
	s_lshl_b64 s[6:7], s[26:27], 2
	s_waitcnt lgkmcnt(0)
	s_add_u32 s24, s4, s6
	s_addc_u32 s25, s5, s7
	s_sub_i32 s4, 1, s22
	s_mul_i32 s4, s21, s4
	s_cmp_lt_i32 s21, 1
	s_cselect_b32 s30, s4, 0
	s_mov_b64 s[4:5], 0
	s_and_saveexec_b64 s[6:7], vcc
	s_xor_b64 s[26:27], exec, s[6:7]
	s_cbranch_execnz .LBB13_4
; %bb.2:
	s_andn2_saveexec_b64 s[6:7], s[26:27]
	s_cbranch_execnz .LBB13_14
.LBB13_3:
	s_or_b64 exec, exec, s[6:7]
	s_and_b64 exec, exec, s[4:5]
	s_cbranch_execnz .LBB13_15
	s_branch .LBB13_17
.LBB13_4:
	s_lshl_b32 s31, s21, 9
	s_sub_i32 s6, 0, s31
	s_cmp_lt_i32 s31, 0
	s_cselect_b64 vcc, -1, 0
	s_and_b64 s[4:5], vcc, exec
	v_lshrrev_b32_e32 v5, 9, v4
	s_cselect_b32 s6, s6, s31
	v_mul_lo_u32 v1, v0, s21
	v_mul_hi_u32 v2, s6, v5
	v_add_u32_e32 v1, s30, v1
	v_cmp_eq_u32_e64 s[4:5], 0, v2
	v_mul_lo_u32 v2, s6, v5
	v_add_u32_e32 v3, v1, v2
	v_sub_u32_e32 v2, v1, v2
	v_cmp_gt_i32_e64 s[6:7], v2, v1
	s_nop 1
	v_cndmask_b32_e64 v2, 0, 1, s[6:7]
	v_cmp_lt_i32_e64 s[6:7], v3, v1
	s_nop 1
	v_cndmask_b32_e64 v1, 0, 1, s[6:7]
	v_cndmask_b32_e32 v1, v1, v2, vcc
	v_and_b32_e32 v1, 1, v1
	v_cmp_eq_u32_e32 vcc, 1, v1
	s_xor_b64 s[28:29], vcc, -1
	s_mov_b64 s[6:7], -1
	s_and_b64 s[28:29], s[28:29], s[4:5]
	v_mov_b32_e32 v1, v0
	s_and_saveexec_b64 s[4:5], s[28:29]
	s_cbranch_execz .LBB13_13
; %bb.5:
	v_add_u32_e32 v2, -1, v5
	v_or_b32_e32 v1, 0x200, v0
	v_lshrrev_b32_e32 v3, 1, v2
	s_mov_b32 s33, 0
	v_add_u32_e32 v6, 1, v3
	v_cmp_lt_u32_e32 vcc, 5, v2
	v_mov_b32_e32 v9, 0
	v_mov_b64_e32 v[2:3], v[0:1]
	s_and_saveexec_b64 s[6:7], vcc
	s_cbranch_execz .LBB13_9
; %bb.6:
	v_and_b32_e32 v7, -4, v6
	v_lshlrev_b32_e32 v8, 2, v0
	s_mov_b64 s[28:29], 0
	v_mov_b64_e32 v[2:3], v[0:1]
.LBB13_7:                               ; =>This Inner Loop Header: Depth=1
	v_mul_lo_u32 v9, v2, s21
	v_mul_lo_u32 v1, v3, s21
	v_add_u32_e32 v10, s30, v9
	v_add_u32_e32 v12, s30, v1
	v_ashrrev_i32_e32 v11, 31, v10
	v_ashrrev_i32_e32 v13, 31, v12
	v_lshl_add_u64 v[10:11], v[10:11], 2, s[24:25]
	v_lshl_add_u64 v[12:13], v[12:13], 2, s[24:25]
	flat_load_dword v1, v[10:11]
	flat_load_dword v9, v[12:13]
	v_add_u32_e32 v10, 0x400, v2
	v_add_u32_e32 v11, 0x400, v3
	v_mul_lo_u32 v10, v10, s21
	v_mul_lo_u32 v11, v11, s21
	v_add_u32_e32 v10, s30, v10
	v_add_u32_e32 v12, s30, v11
	v_ashrrev_i32_e32 v11, 31, v10
	v_ashrrev_i32_e32 v13, 31, v12
	v_lshl_add_u64 v[10:11], v[10:11], 2, s[24:25]
	v_lshl_add_u64 v[12:13], v[12:13], 2, s[24:25]
	v_add_u32_e32 v7, -4, v7
	s_add_i32 s33, s33, 8
	v_cmp_eq_u32_e32 vcc, 0, v7
	s_or_b64 s[28:29], vcc, s[28:29]
	s_waitcnt vmcnt(0) lgkmcnt(0)
	ds_write2st64_b32 v8, v1, v9 offset1:8
	flat_load_dword v1, v[10:11]
	flat_load_dword v9, v[12:13]
	v_add_u32_e32 v10, 0x800, v2
	v_add_u32_e32 v11, 0x800, v3
	v_mul_lo_u32 v10, v10, s21
	v_mul_lo_u32 v11, v11, s21
	v_add_u32_e32 v10, s30, v10
	v_add_u32_e32 v12, s30, v11
	v_ashrrev_i32_e32 v11, 31, v10
	v_ashrrev_i32_e32 v13, 31, v12
	v_lshl_add_u64 v[10:11], v[10:11], 2, s[24:25]
	v_lshl_add_u64 v[12:13], v[12:13], 2, s[24:25]
	s_waitcnt vmcnt(0) lgkmcnt(0)
	ds_write2st64_b32 v8, v1, v9 offset0:16 offset1:24
	flat_load_dword v1, v[10:11]
	flat_load_dword v9, v[12:13]
	v_add_u32_e32 v10, 0xc00, v2
	v_add_u32_e32 v11, 0xc00, v3
	v_mul_lo_u32 v10, v10, s21
	v_mul_lo_u32 v11, v11, s21
	v_add_u32_e32 v10, s30, v10
	v_add_u32_e32 v12, s30, v11
	v_ashrrev_i32_e32 v11, 31, v10
	v_ashrrev_i32_e32 v13, 31, v12
	v_lshl_add_u64 v[10:11], v[10:11], 2, s[24:25]
	v_lshl_add_u64 v[12:13], v[12:13], 2, s[24:25]
	v_add_u32_e32 v3, 0x1000, v3
	v_add_u32_e32 v2, 0x1000, v2
	s_waitcnt vmcnt(0) lgkmcnt(0)
	ds_write2st64_b32 v8, v1, v9 offset0:32 offset1:40
	flat_load_dword v1, v[10:11]
	flat_load_dword v14, v[12:13]
	v_mov_b32_e32 v9, s33
	s_waitcnt vmcnt(0) lgkmcnt(0)
	ds_write2st64_b32 v8, v1, v14 offset0:48 offset1:56
	v_add_u32_e32 v8, 0x4000, v8
	s_andn2_b64 exec, exec, s[28:29]
	s_cbranch_execnz .LBB13_7
; %bb.8:
	s_or_b64 exec, exec, s[28:29]
.LBB13_9:
	s_or_b64 exec, exec, s[6:7]
	v_and_b32_e32 v1, 3, v6
	v_cmp_ne_u32_e32 vcc, 0, v1
	s_and_saveexec_b64 s[6:7], vcc
	s_cbranch_execz .LBB13_12
; %bb.10:
	v_lshlrev_b32_e32 v6, 2, v0
	v_lshl_or_b32 v6, v9, 11, v6
	s_mov_b64 s[28:29], 0
.LBB13_11:                              ; =>This Inner Loop Header: Depth=1
	v_mul_lo_u32 v8, v2, s21
	v_mul_lo_u32 v7, v3, s21
	v_add_u32_e32 v8, s30, v8
	v_add_u32_e32 v10, s30, v7
	v_ashrrev_i32_e32 v9, 31, v8
	v_ashrrev_i32_e32 v11, 31, v10
	v_lshl_add_u64 v[8:9], v[8:9], 2, s[24:25]
	v_lshl_add_u64 v[10:11], v[10:11], 2, s[24:25]
	flat_load_dword v7, v[8:9]
	flat_load_dword v12, v[10:11]
	v_add_u32_e32 v1, -1, v1
	v_cmp_eq_u32_e32 vcc, 0, v1
	v_add_u32_e32 v3, 0x400, v3
	v_add_u32_e32 v2, 0x400, v2
	s_or_b64 s[28:29], vcc, s[28:29]
	s_waitcnt vmcnt(0) lgkmcnt(0)
	ds_write2st64_b32 v6, v7, v12 offset1:8
	v_add_u32_e32 v6, 0x1000, v6
	s_andn2_b64 exec, exec, s[28:29]
	s_cbranch_execnz .LBB13_11
.LBB13_12:
	s_or_b64 exec, exec, s[6:7]
	v_add_u32_e32 v2, 1, v5
	v_and_b32_e32 v3, 0xfffffe, v2
	v_cmp_ne_u32_e32 vcc, v2, v3
	v_lshl_or_b32 v1, v3, 9, v0
	s_orn2_b64 s[6:7], vcc, exec
.LBB13_13:
	s_or_b64 exec, exec, s[4:5]
	v_mov_b32_e32 v5, s31
	s_and_b64 s[4:5], s[6:7], exec
	s_andn2_saveexec_b64 s[6:7], s[26:27]
	s_cbranch_execz .LBB13_3
.LBB13_14:
	s_lshl_b32 s26, s21, 9
	v_mov_b32_e32 v5, s26
	s_or_b64 s[4:5], s[4:5], exec
	v_mov_b32_e32 v1, v0
	s_or_b64 exec, exec, s[6:7]
	s_and_b64 exec, exec, s[4:5]
	s_cbranch_execz .LBB13_17
.LBB13_15:
	v_mul_lo_u32 v2, v1, s21
	v_add_u32_e32 v2, s30, v2
	v_lshlrev_b32_e32 v6, 2, v1
	s_mov_b64 s[4:5], 0
.LBB13_16:                              ; =>This Inner Loop Header: Depth=1
	v_ashrrev_i32_e32 v3, 31, v2
	v_lshl_add_u64 v[8:9], v[2:3], 2, s[24:25]
	flat_load_dword v3, v[8:9]
	v_add_u32_e32 v1, 0x200, v1
	v_cmp_le_i32_e32 vcc, s22, v1
	v_add_u32_e32 v2, v2, v5
	s_or_b64 s[4:5], vcc, s[4:5]
	s_waitcnt vmcnt(0) lgkmcnt(0)
	ds_write_b32 v6, v3
	v_add_u32_e32 v6, 0x800, v6
	s_andn2_b64 exec, exec, s[4:5]
	s_cbranch_execnz .LBB13_16
.LBB13_17:
	s_or_b64 exec, exec, s[16:17]
	s_cmp_ge_i32 s20, s23
	s_waitcnt lgkmcnt(0)
	s_barrier
	s_cbranch_scc1 .LBB13_55
; %bb.18:
	s_load_dword s21, s[0:1], 0x48
	s_lshl_b64 s[0:1], s[14:15], 2
	s_add_u32 s0, s12, s0
	s_mul_i32 s3, s10, s3
	s_mul_hi_u32 s4, s10, s2
	s_addc_u32 s1, s13, s1
	s_add_i32 s3, s4, s3
	s_mul_i32 s4, s11, s2
	s_add_i32 s3, s3, s4
	s_mul_i32 s2, s10, s2
	s_lshl_b64 s[2:3], s[2:3], 2
	s_add_u32 s24, s8, s2
	v_and_b32_e32 v1, 63, v0
	s_addc_u32 s25, s9, s3
	v_cmp_eq_u32_e64 s[2:3], 0, v1
	v_lshrrev_b32_e32 v1, 9, v4
	v_add_u32_e32 v3, -1, v1
	v_add_u32_e32 v2, 1, v1
	v_lshrrev_b32_e32 v1, 1, v3
	s_movk_i32 s8, 0xdff
	s_movk_i32 s10, 0x1ff
	s_cmp_gt_i32 s22, 1
	v_add_u32_e32 v5, 1, v1
	v_cmp_lt_u32_e64 s[8:9], s8, v4
	v_cmp_lt_u32_e64 s[10:11], s10, v4
	v_and_b32_e32 v4, 0xfffffe, v2
	s_cselect_b64 s[26:27], -1, 0
	v_lshl_or_b32 v15, v4, 9, v0
	v_and_b32_e32 v16, 3, v5
	v_and_b32_e32 v17, -4, v5
	v_cmp_ne_u32_e64 s[16:17], v2, v4
	v_mov_b32_e32 v5, 0
	s_waitcnt lgkmcnt(0)
	s_lshl_b32 s33, s21, 6
	v_mbcnt_lo_u32_b32 v4, -1, 0
	v_and_b32_e32 v8, 7, v2
	v_cmp_lt_u32_e64 s[12:13], 5, v3
	v_lshlrev_b32_e32 v2, 2, v0
	v_mov_b32_e32 v3, v5
	s_add_u32 s46, s0, 0x3800
	v_mbcnt_hi_u32_b32 v21, -1, v4
	v_mov_b32_e32 v4, 0x80
	v_lshrrev_b32_e32 v14, 4, v0
	v_cmp_eq_u32_e64 s[4:5], 0, v0
	v_cmp_ne_u32_e64 s[6:7], 0, v8
	v_or_b32_e32 v1, 0x200, v0
	v_cmp_ne_u32_e64 s[14:15], 0, v16
	v_lshl_add_u64 v[6:7], s[0:1], 0, v[2:3]
	s_mul_i32 s28, s20, s21
	v_lshlrev_b32_e32 v3, 2, v8
	s_addc_u32 s47, s1, 0
	s_mov_b64 s[30:31], 0x800
	s_mov_b64 s[34:35], 0x4000
	v_mov_b32_e32 v18, 0x2004
	v_mov_b32_e32 v19, 0x200c
	;; [unrolled: 1-line block ×3, first 2 shown]
	v_and_b32_e32 v22, 63, v21
	v_lshl_or_b32 v23, v21, 2, v4
	s_branch .LBB13_20
.LBB13_19:                              ;   in Loop: Header=BB13_20 Depth=1
	s_or_b64 exec, exec, s[38:39]
	s_add_i32 s20, s20, 64
	s_add_i32 s28, s28, s33
	s_cmp_ge_i32 s20, s23
	s_cbranch_scc1 .LBB13_55
.LBB13_20:                              ; =>This Loop Header: Depth=1
                                        ;     Child Loop BB13_23 Depth 2
                                        ;     Child Loop BB13_27 Depth 2
	;; [unrolled: 1-line block ×5, first 2 shown]
	s_ashr_i32 s29, s28, 31
	s_lshl_b64 s[36:37], s[28:29], 2
	v_mov_b32_e32 v10, 0
	s_and_saveexec_b64 s[38:39], s[18:19]
	s_cbranch_execz .LBB13_30
; %bb.21:                               ;   in Loop: Header=BB13_20 Depth=1
	v_mov_b32_e32 v10, 0
	v_mov_b32_e32 v4, v0
	s_and_saveexec_b64 s[40:41], s[6:7]
	s_cbranch_execz .LBB13_25
; %bb.22:                               ;   in Loop: Header=BB13_20 Depth=1
	v_lshl_add_u64 v[8:9], v[6:7], 0, s[36:37]
	v_mov_b32_e32 v10, 0
	s_mov_b64 s[42:43], 0
	v_mov_b32_e32 v11, v3
	v_mov_b32_e32 v12, v2
	;; [unrolled: 1-line block ×3, first 2 shown]
.LBB13_23:                              ;   Parent Loop BB13_20 Depth=1
                                        ; =>  This Inner Loop Header: Depth=2
	flat_load_dword v13, v[8:9]
	ds_read_b32 v24, v12
	v_add_u32_e32 v11, -4, v11
	v_cmp_eq_u32_e32 vcc, 0, v11
	v_add_u32_e32 v4, 0x200, v4
	v_add_u32_e32 v12, 0x800, v12
	v_lshl_add_u64 v[8:9], v[8:9], 0, s[30:31]
	s_or_b64 s[42:43], vcc, s[42:43]
	s_waitcnt vmcnt(0) lgkmcnt(0)
	v_fmac_f32_e32 v10, v24, v13
	s_andn2_b64 exec, exec, s[42:43]
	s_cbranch_execnz .LBB13_23
; %bb.24:                               ;   in Loop: Header=BB13_20 Depth=1
	s_or_b64 exec, exec, s[42:43]
.LBB13_25:                              ;   in Loop: Header=BB13_20 Depth=1
	s_or_b64 exec, exec, s[40:41]
	s_and_saveexec_b64 s[40:41], s[8:9]
	s_cbranch_execz .LBB13_29
; %bb.26:                               ;   in Loop: Header=BB13_20 Depth=1
	s_add_u32 s42, s46, s36
	s_addc_u32 s43, s47, s37
	v_lshl_add_u64 v[8:9], v[4:5], 2, s[42:43]
	v_lshlrev_b32_e32 v11, 2, v4
	s_mov_b64 s[42:43], 0
.LBB13_27:                              ;   Parent Loop BB13_20 Depth=1
                                        ; =>  This Inner Loop Header: Depth=2
	v_add_co_u32_e32 v12, vcc, 0xffffc800, v8
	v_add_u32_e32 v4, 0x1000, v4
	s_nop 0
	v_addc_co_u32_e32 v13, vcc, -1, v9, vcc
	v_add_co_u32_e32 v24, vcc, 0xffffd000, v8
	flat_load_dword v30, v[12:13]
	s_nop 0
	v_addc_co_u32_e32 v25, vcc, -1, v9, vcc
	v_add_co_u32_e32 v12, vcc, 0xffffd800, v8
	s_nop 1
	v_addc_co_u32_e32 v13, vcc, -1, v9, vcc
	v_add_co_u32_e32 v26, vcc, 0xffffe000, v8
	flat_load_dword v31, v[24:25]
	flat_load_dword v32, v[12:13]
	v_addc_co_u32_e32 v27, vcc, -1, v9, vcc
	v_add_co_u32_e32 v12, vcc, 0xffffe800, v8
	s_nop 1
	v_addc_co_u32_e32 v13, vcc, -1, v9, vcc
	v_add_co_u32_e32 v24, vcc, 0xfffff000, v8
	flat_load_dword v33, v[26:27]
	flat_load_dword v34, v[12:13]
	v_addc_co_u32_e32 v25, vcc, -1, v9, vcc
	v_add_co_u32_e32 v12, vcc, 0xfffff800, v8
	s_nop 1
	v_addc_co_u32_e32 v13, vcc, -1, v9, vcc
	flat_load_dword v35, v[24:25]
	flat_load_dword v36, v[12:13]
	;; [unrolled: 1-line block ×3, first 2 shown]
	ds_read2st64_b32 v[12:13], v11 offset1:8
	ds_read2st64_b32 v[24:25], v11 offset0:16 offset1:24
	ds_read2st64_b32 v[26:27], v11 offset0:32 offset1:40
	ds_read2st64_b32 v[28:29], v11 offset0:48 offset1:56
	v_cmp_le_i32_e32 vcc, s22, v4
	v_add_u32_e32 v11, 0x4000, v11
	s_or_b64 s[42:43], vcc, s[42:43]
	v_lshl_add_u64 v[8:9], v[8:9], 0, s[34:35]
	s_waitcnt vmcnt(0) lgkmcnt(0)
	v_fmac_f32_e32 v10, v12, v30
	v_fmac_f32_e32 v10, v13, v31
	v_fmac_f32_e32 v10, v24, v32
	v_fmac_f32_e32 v10, v25, v33
	v_fmac_f32_e32 v10, v26, v34
	v_fmac_f32_e32 v10, v27, v35
	v_fmac_f32_e32 v10, v28, v36
	v_fmac_f32_e32 v10, v29, v37
	s_andn2_b64 exec, exec, s[42:43]
	s_cbranch_execnz .LBB13_27
; %bb.28:                               ;   in Loop: Header=BB13_20 Depth=1
	s_or_b64 exec, exec, s[42:43]
.LBB13_29:                              ;   in Loop: Header=BB13_20 Depth=1
	s_or_b64 exec, exec, s[40:41]
.LBB13_30:                              ;   in Loop: Header=BB13_20 Depth=1
	s_or_b64 exec, exec, s[38:39]
	s_and_b64 vcc, exec, s[26:27]
	s_cbranch_vccz .LBB13_37
; %bb.31:                               ;   in Loop: Header=BB13_20 Depth=1
	v_cmp_ne_u32_e32 vcc, 63, v22
	s_nop 1
	v_addc_co_u32_e32 v4, vcc, 0, v21, vcc
	v_lshlrev_b32_e32 v4, 2, v4
	ds_bpermute_b32 v4, v4, v10
	v_cmp_gt_u32_e32 vcc, 62, v22
	s_waitcnt lgkmcnt(0)
	v_add_f32_e32 v4, v10, v4
	v_cndmask_b32_e64 v8, 0, 2, vcc
	v_add_lshl_u32 v8, v8, v21, 2
	ds_bpermute_b32 v8, v8, v4
	v_cmp_gt_u32_e32 vcc, 60, v22
	s_waitcnt lgkmcnt(0)
	v_add_f32_e32 v4, v4, v8
	v_cndmask_b32_e64 v9, 0, 4, vcc
	v_add_lshl_u32 v9, v9, v21, 2
	;; [unrolled: 6-line block ×4, first 2 shown]
	ds_bpermute_b32 v8, v8, v4
	s_waitcnt lgkmcnt(0)
	v_add_f32_e32 v4, v4, v8
	ds_bpermute_b32 v8, v23, v4
	s_waitcnt lgkmcnt(0)
	v_add_f32_e32 v4, v4, v8
	s_and_saveexec_b64 s[38:39], s[2:3]
; %bb.32:                               ;   in Loop: Header=BB13_20 Depth=1
	ds_write_b32 v14, v4 offset:8192
; %bb.33:                               ;   in Loop: Header=BB13_20 Depth=1
	s_or_b64 exec, exec, s[38:39]
	s_mov_b64 s[40:41], 0
	s_mov_b64 s[38:39], 0
	s_waitcnt lgkmcnt(0)
	s_barrier
                                        ; implicit-def: $vgpr8
	s_and_saveexec_b64 s[42:43], s[4:5]
	s_xor_b64 s[42:43], exec, s[42:43]
	s_cbranch_execz .LBB13_35
; %bb.34:                               ;   in Loop: Header=BB13_20 Depth=1
	ds_read2_b32 v[8:9], v18 offset1:1
	ds_read2_b32 v[12:13], v19 offset1:1
	;; [unrolled: 1-line block ×3, first 2 shown]
	ds_read_b32 v11, v5 offset:8220
	s_mov_b64 s[38:39], exec
	s_waitcnt lgkmcnt(0)
	v_add_f32_e32 v4, v4, v8
	v_add_f32_e32 v4, v4, v9
	s_waitcnt lgkmcnt(2)
	v_add_f32_e32 v4, v4, v12
	v_add_f32_e32 v4, v4, v13
	;; [unrolled: 3-line block ×3, first 2 shown]
	s_waitcnt lgkmcnt(0)
	v_add_f32_e32 v8, v4, v11
.LBB13_35:                              ;   in Loop: Header=BB13_20 Depth=1
	s_or_b64 exec, exec, s[42:43]
	s_and_b64 vcc, exec, s[40:41]
	s_cbranch_vccnz .LBB13_38
.LBB13_36:                              ;   in Loop: Header=BB13_20 Depth=1
	v_mov_b32_e32 v10, v8
	s_and_saveexec_b64 s[40:41], s[38:39]
	s_cbranch_execnz .LBB13_39
	s_branch .LBB13_40
.LBB13_37:                              ;   in Loop: Header=BB13_20 Depth=1
	s_mov_b64 s[38:39], 0
                                        ; implicit-def: $vgpr8
	s_cbranch_execz .LBB13_36
.LBB13_38:                              ;   in Loop: Header=BB13_20 Depth=1
	s_andn2_b64 s[38:39], s[38:39], exec
	s_and_b64 s[40:41], s[4:5], exec
	s_or_b64 s[38:39], s[38:39], s[40:41]
	s_and_saveexec_b64 s[40:41], s[38:39]
.LBB13_39:                              ;   in Loop: Header=BB13_20 Depth=1
	ds_write_b32 v5, v10 offset:8192
.LBB13_40:                              ;   in Loop: Header=BB13_20 Depth=1
	s_or_b64 exec, exec, s[40:41]
	s_waitcnt lgkmcnt(0)
	s_barrier
	s_and_saveexec_b64 s[38:39], s[18:19]
	s_cbranch_execz .LBB13_19
; %bb.41:                               ;   in Loop: Header=BB13_20 Depth=1
	global_load_dword v4, v5, s[24:25]
	ds_read_b32 v8, v5 offset:8192
	s_mov_b64 s[42:43], -1
	v_mov_b32_e32 v10, v0
	s_waitcnt vmcnt(0) lgkmcnt(0)
	v_mul_f32_e64 v8, v8, -v4
	v_mov_b32_e32 v4, v2
	s_and_saveexec_b64 s[40:41], s[10:11]
	s_cbranch_execz .LBB13_52
; %bb.42:                               ;   in Loop: Header=BB13_20 Depth=1
	s_mul_i32 s29, s20, s21
	v_mov_b32_e32 v9, v8
	v_mov_b32_e32 v13, 0
	v_mov_b64_e32 v[10:11], v[0:1]
	s_and_saveexec_b64 s[42:43], s[12:13]
	s_cbranch_execz .LBB13_46
; %bb.43:                               ;   in Loop: Header=BB13_20 Depth=1
	s_add_i32 s48, s29, 0x400
	s_add_i32 s50, s29, 0x800
	;; [unrolled: 1-line block ×3, first 2 shown]
	s_mov_b32 s49, s48
	s_mov_b32 s51, s50
	;; [unrolled: 1-line block ×4, first 2 shown]
	s_mov_b64 s[44:45], 0
	v_mov_b32_e32 v4, v17
	v_mov_b32_e32 v12, v2
	v_mov_b64_e32 v[10:11], v[0:1]
.LBB13_44:                              ;   Parent Loop BB13_20 Depth=1
                                        ; =>  This Inner Loop Header: Depth=2
	v_add_u32_e32 v24, s29, v10
	v_add_u32_e32 v26, s29, v11
	v_ashrrev_i32_e32 v25, 31, v24
	v_ashrrev_i32_e32 v27, 31, v26
	v_lshl_add_u64 v[24:25], v[24:25], 2, s[0:1]
	v_lshl_add_u64 v[26:27], v[26:27], 2, s[0:1]
	flat_load_dword v28, v[24:25]
	flat_load_dword v29, v[26:27]
	ds_read2st64_b32 v[30:31], v12 offset1:8
	v_add_u32_e32 v32, s48, v10
	v_add_u32_e32 v34, s49, v11
	v_ashrrev_i32_e32 v33, 31, v32
	v_ashrrev_i32_e32 v35, 31, v34
	v_lshl_add_u64 v[32:33], v[32:33], 2, s[0:1]
	v_lshl_add_u64 v[34:35], v[34:35], 2, s[0:1]
	v_add_u32_e32 v4, -4, v4
	s_add_i32 s54, s54, 8
	v_cmp_eq_u32_e32 vcc, 0, v4
	v_mov_b32_e32 v13, s54
	s_or_b64 s[44:45], vcc, s[44:45]
	s_waitcnt vmcnt(0) lgkmcnt(0)
	v_pk_fma_f32 v[28:29], v[8:9], v[30:31], v[28:29]
	flat_store_dword v[24:25], v28
	flat_store_dword v[26:27], v29
	flat_load_dword v24, v[32:33]
	s_nop 0
	flat_load_dword v25, v[34:35]
	ds_read2st64_b32 v[30:31], v12 offset0:16 offset1:24
	v_add_u32_e32 v26, s50, v10
	v_add_u32_e32 v28, s51, v11
	v_ashrrev_i32_e32 v27, 31, v26
	v_ashrrev_i32_e32 v29, 31, v28
	v_lshl_add_u64 v[26:27], v[26:27], 2, s[0:1]
	v_lshl_add_u64 v[28:29], v[28:29], 2, s[0:1]
	s_waitcnt vmcnt(0) lgkmcnt(0)
	v_pk_fma_f32 v[24:25], v[8:9], v[30:31], v[24:25]
	flat_store_dword v[32:33], v24
	flat_store_dword v[34:35], v25
	flat_load_dword v24, v[26:27]
	s_nop 0
	flat_load_dword v25, v[28:29]
	ds_read2st64_b32 v[34:35], v12 offset0:32 offset1:40
	v_add_u32_e32 v30, s52, v10
	v_add_u32_e32 v32, s53, v11
	v_ashrrev_i32_e32 v31, 31, v30
	v_ashrrev_i32_e32 v33, 31, v32
	v_lshl_add_u64 v[30:31], v[30:31], 2, s[0:1]
	v_lshl_add_u64 v[32:33], v[32:33], 2, s[0:1]
	v_add_u32_e32 v11, 0x1000, v11
	v_add_u32_e32 v10, 0x1000, v10
	s_waitcnt vmcnt(0) lgkmcnt(0)
	v_pk_fma_f32 v[24:25], v[8:9], v[34:35], v[24:25]
	flat_store_dword v[26:27], v24
	flat_store_dword v[28:29], v25
	flat_load_dword v24, v[30:31]
	s_nop 0
	flat_load_dword v25, v[32:33]
	ds_read2st64_b32 v[26:27], v12 offset0:48 offset1:56
	v_add_u32_e32 v12, 0x4000, v12
	s_waitcnt vmcnt(0) lgkmcnt(0)
	v_pk_fma_f32 v[24:25], v[8:9], v[26:27], v[24:25]
	flat_store_dword v[30:31], v24
	flat_store_dword v[32:33], v25
	s_andn2_b64 exec, exec, s[44:45]
	s_cbranch_execnz .LBB13_44
; %bb.45:                               ;   in Loop: Header=BB13_20 Depth=1
	s_or_b64 exec, exec, s[44:45]
.LBB13_46:                              ;   in Loop: Header=BB13_20 Depth=1
	s_or_b64 exec, exec, s[42:43]
	s_and_saveexec_b64 s[42:43], s[14:15]
	s_cbranch_execz .LBB13_49
; %bb.47:                               ;   in Loop: Header=BB13_20 Depth=1
	v_lshl_or_b32 v4, v13, 11, v2
	s_mov_b64 s[44:45], 0
	v_mov_b32_e32 v12, v16
.LBB13_48:                              ;   Parent Loop BB13_20 Depth=1
                                        ; =>  This Inner Loop Header: Depth=2
	v_add_u32_e32 v24, s29, v10
	v_add_u32_e32 v26, s29, v11
	v_ashrrev_i32_e32 v25, 31, v24
	v_ashrrev_i32_e32 v27, 31, v26
	v_lshl_add_u64 v[24:25], v[24:25], 2, s[0:1]
	v_lshl_add_u64 v[26:27], v[26:27], 2, s[0:1]
	flat_load_dword v28, v[24:25]
	flat_load_dword v29, v[26:27]
	ds_read2st64_b32 v[30:31], v4 offset1:8
	v_add_u32_e32 v12, -1, v12
	v_cmp_eq_u32_e32 vcc, 0, v12
	v_add_u32_e32 v11, 0x400, v11
	v_add_u32_e32 v10, 0x400, v10
	;; [unrolled: 1-line block ×3, first 2 shown]
	s_or_b64 s[44:45], vcc, s[44:45]
	s_waitcnt vmcnt(0) lgkmcnt(0)
	v_pk_fma_f32 v[28:29], v[8:9], v[30:31], v[28:29]
	flat_store_dword v[24:25], v28
	flat_store_dword v[26:27], v29
	s_andn2_b64 exec, exec, s[44:45]
	s_cbranch_execnz .LBB13_48
.LBB13_49:                              ;   in Loop: Header=BB13_20 Depth=1
	s_or_b64 exec, exec, s[42:43]
	s_mov_b64 s[42:43], 0
                                        ; implicit-def: $vgpr4
	s_and_saveexec_b64 s[44:45], s[16:17]
; %bb.50:                               ;   in Loop: Header=BB13_20 Depth=1
	s_mov_b64 s[42:43], exec
	v_lshlrev_b32_e32 v4, 2, v15
; %bb.51:                               ;   in Loop: Header=BB13_20 Depth=1
	s_or_b64 exec, exec, s[44:45]
	s_orn2_b64 s[42:43], s[42:43], exec
	v_mov_b32_e32 v10, v15
.LBB13_52:                              ;   in Loop: Header=BB13_20 Depth=1
	s_or_b64 exec, exec, s[40:41]
	s_and_b64 exec, exec, s[42:43]
	s_cbranch_execz .LBB13_19
; %bb.53:                               ;   in Loop: Header=BB13_20 Depth=1
	s_add_u32 s36, s0, s36
	v_ashrrev_i32_e32 v11, 31, v10
	s_addc_u32 s37, s1, s37
	v_lshl_add_u64 v[12:13], v[10:11], 2, s[36:37]
	s_mov_b64 s[36:37], 0
.LBB13_54:                              ;   Parent Loop BB13_20 Depth=1
                                        ; =>  This Inner Loop Header: Depth=2
	flat_load_dword v9, v[12:13]
	ds_read_b32 v11, v4
	v_add_u32_e32 v10, 0x200, v10
	v_cmp_le_i32_e32 vcc, s22, v10
	s_or_b64 s[36:37], vcc, s[36:37]
	v_add_u32_e32 v4, 0x800, v4
	s_waitcnt vmcnt(0) lgkmcnt(0)
	v_fmac_f32_e32 v9, v8, v11
	flat_store_dword v[12:13], v9
	v_lshl_add_u64 v[12:13], v[12:13], 0, s[30:31]
	s_andn2_b64 exec, exec, s[36:37]
	s_cbranch_execnz .LBB13_54
	s_branch .LBB13_19
.LBB13_55:
	s_endpgm
	.section	.rodata,"a",@progbits
	.p2align	6, 0x0
	.amdhsa_kernel _ZN9rocsolver6v33100L22larf_left_kernel_smallILi512EfiPKPfEEvT1_S5_T2_lS5_lPKT0_lS6_lS5_l
		.amdhsa_group_segment_fixed_size 10240
		.amdhsa_private_segment_fixed_size 0
		.amdhsa_kernarg_size 88
		.amdhsa_user_sgpr_count 2
		.amdhsa_user_sgpr_dispatch_ptr 0
		.amdhsa_user_sgpr_queue_ptr 0
		.amdhsa_user_sgpr_kernarg_segment_ptr 1
		.amdhsa_user_sgpr_dispatch_id 0
		.amdhsa_user_sgpr_kernarg_preload_length 0
		.amdhsa_user_sgpr_kernarg_preload_offset 0
		.amdhsa_user_sgpr_private_segment_size 0
		.amdhsa_uses_dynamic_stack 0
		.amdhsa_enable_private_segment 0
		.amdhsa_system_sgpr_workgroup_id_x 1
		.amdhsa_system_sgpr_workgroup_id_y 1
		.amdhsa_system_sgpr_workgroup_id_z 0
		.amdhsa_system_sgpr_workgroup_info 0
		.amdhsa_system_vgpr_workitem_id 0
		.amdhsa_next_free_vgpr 38
		.amdhsa_next_free_sgpr 55
		.amdhsa_accum_offset 40
		.amdhsa_reserve_vcc 1
		.amdhsa_float_round_mode_32 0
		.amdhsa_float_round_mode_16_64 0
		.amdhsa_float_denorm_mode_32 3
		.amdhsa_float_denorm_mode_16_64 3
		.amdhsa_dx10_clamp 1
		.amdhsa_ieee_mode 1
		.amdhsa_fp16_overflow 0
		.amdhsa_tg_split 0
		.amdhsa_exception_fp_ieee_invalid_op 0
		.amdhsa_exception_fp_denorm_src 0
		.amdhsa_exception_fp_ieee_div_zero 0
		.amdhsa_exception_fp_ieee_overflow 0
		.amdhsa_exception_fp_ieee_underflow 0
		.amdhsa_exception_fp_ieee_inexact 0
		.amdhsa_exception_int_div_zero 0
	.end_amdhsa_kernel
	.section	.text._ZN9rocsolver6v33100L22larf_left_kernel_smallILi512EfiPKPfEEvT1_S5_T2_lS5_lPKT0_lS6_lS5_l,"axG",@progbits,_ZN9rocsolver6v33100L22larf_left_kernel_smallILi512EfiPKPfEEvT1_S5_T2_lS5_lPKT0_lS6_lS5_l,comdat
.Lfunc_end13:
	.size	_ZN9rocsolver6v33100L22larf_left_kernel_smallILi512EfiPKPfEEvT1_S5_T2_lS5_lPKT0_lS6_lS5_l, .Lfunc_end13-_ZN9rocsolver6v33100L22larf_left_kernel_smallILi512EfiPKPfEEvT1_S5_T2_lS5_lPKT0_lS6_lS5_l
                                        ; -- End function
	.set _ZN9rocsolver6v33100L22larf_left_kernel_smallILi512EfiPKPfEEvT1_S5_T2_lS5_lPKT0_lS6_lS5_l.num_vgpr, 38
	.set _ZN9rocsolver6v33100L22larf_left_kernel_smallILi512EfiPKPfEEvT1_S5_T2_lS5_lPKT0_lS6_lS5_l.num_agpr, 0
	.set _ZN9rocsolver6v33100L22larf_left_kernel_smallILi512EfiPKPfEEvT1_S5_T2_lS5_lPKT0_lS6_lS5_l.numbered_sgpr, 55
	.set _ZN9rocsolver6v33100L22larf_left_kernel_smallILi512EfiPKPfEEvT1_S5_T2_lS5_lPKT0_lS6_lS5_l.num_named_barrier, 0
	.set _ZN9rocsolver6v33100L22larf_left_kernel_smallILi512EfiPKPfEEvT1_S5_T2_lS5_lPKT0_lS6_lS5_l.private_seg_size, 0
	.set _ZN9rocsolver6v33100L22larf_left_kernel_smallILi512EfiPKPfEEvT1_S5_T2_lS5_lPKT0_lS6_lS5_l.uses_vcc, 1
	.set _ZN9rocsolver6v33100L22larf_left_kernel_smallILi512EfiPKPfEEvT1_S5_T2_lS5_lPKT0_lS6_lS5_l.uses_flat_scratch, 0
	.set _ZN9rocsolver6v33100L22larf_left_kernel_smallILi512EfiPKPfEEvT1_S5_T2_lS5_lPKT0_lS6_lS5_l.has_dyn_sized_stack, 0
	.set _ZN9rocsolver6v33100L22larf_left_kernel_smallILi512EfiPKPfEEvT1_S5_T2_lS5_lPKT0_lS6_lS5_l.has_recursion, 0
	.set _ZN9rocsolver6v33100L22larf_left_kernel_smallILi512EfiPKPfEEvT1_S5_T2_lS5_lPKT0_lS6_lS5_l.has_indirect_call, 0
	.section	.AMDGPU.csdata,"",@progbits
; Kernel info:
; codeLenInByte = 3196
; TotalNumSgprs: 61
; NumVgprs: 38
; NumAgprs: 0
; TotalNumVgprs: 38
; ScratchSize: 0
; MemoryBound: 0
; FloatMode: 240
; IeeeMode: 1
; LDSByteSize: 10240 bytes/workgroup (compile time only)
; SGPRBlocks: 7
; VGPRBlocks: 4
; NumSGPRsForWavesPerEU: 61
; NumVGPRsForWavesPerEU: 38
; AccumOffset: 40
; Occupancy: 8
; WaveLimiterHint : 1
; COMPUTE_PGM_RSRC2:SCRATCH_EN: 0
; COMPUTE_PGM_RSRC2:USER_SGPR: 2
; COMPUTE_PGM_RSRC2:TRAP_HANDLER: 0
; COMPUTE_PGM_RSRC2:TGID_X_EN: 1
; COMPUTE_PGM_RSRC2:TGID_Y_EN: 1
; COMPUTE_PGM_RSRC2:TGID_Z_EN: 0
; COMPUTE_PGM_RSRC2:TIDIG_COMP_CNT: 0
; COMPUTE_PGM_RSRC3_GFX90A:ACCUM_OFFSET: 9
; COMPUTE_PGM_RSRC3_GFX90A:TG_SPLIT: 0
	.section	.text._ZN9rocsolver6v33100L22larf_left_kernel_smallILi1024EfiPKPfEEvT1_S5_T2_lS5_lPKT0_lS6_lS5_l,"axG",@progbits,_ZN9rocsolver6v33100L22larf_left_kernel_smallILi1024EfiPKPfEEvT1_S5_T2_lS5_lPKT0_lS6_lS5_l,comdat
	.globl	_ZN9rocsolver6v33100L22larf_left_kernel_smallILi1024EfiPKPfEEvT1_S5_T2_lS5_lPKT0_lS6_lS5_l ; -- Begin function _ZN9rocsolver6v33100L22larf_left_kernel_smallILi1024EfiPKPfEEvT1_S5_T2_lS5_lPKT0_lS6_lS5_l
	.p2align	8
	.type	_ZN9rocsolver6v33100L22larf_left_kernel_smallILi1024EfiPKPfEEvT1_S5_T2_lS5_lPKT0_lS6_lS5_l,@function
_ZN9rocsolver6v33100L22larf_left_kernel_smallILi1024EfiPKPfEEvT1_S5_T2_lS5_lPKT0_lS6_lS5_l: ; @_ZN9rocsolver6v33100L22larf_left_kernel_smallILi1024EfiPKPfEEvT1_S5_T2_lS5_lPKT0_lS6_lS5_l
; %bb.0:
	s_load_dwordx8 s[8:15], s[0:1], 0x28
	s_load_dwordx2 s[22:23], s[0:1], 0x0
	s_mov_b32 s20, s3
	s_ashr_i32 s3, s2, 31
	s_lshl_b64 s[4:5], s[2:3], 3
	s_waitcnt lgkmcnt(0)
	s_add_u32 s6, s12, s4
	s_addc_u32 s7, s13, s5
	s_load_dwordx2 s[12:13], s[6:7], 0x0
	v_cmp_gt_i32_e64 s[18:19], s22, v0
	v_xad_u32 v4, v0, -1, s22
	s_and_saveexec_b64 s[16:17], s[18:19]
	s_cbranch_execz .LBB14_17
; %bb.1:
	s_load_dwordx4 s[24:27], s[0:1], 0x8
	s_load_dword s21, s[0:1], 0x18
	s_movk_i32 s6, 0x5bff
	v_cmp_lt_u32_e32 vcc, s6, v4
                                        ; implicit-def: $vgpr1
                                        ; implicit-def: $vgpr5
	s_waitcnt lgkmcnt(0)
	s_add_u32 s4, s24, s4
	s_addc_u32 s5, s25, s5
	s_load_dwordx2 s[4:5], s[4:5], 0x0
	s_lshl_b64 s[6:7], s[26:27], 2
	s_waitcnt lgkmcnt(0)
	s_add_u32 s24, s4, s6
	s_addc_u32 s25, s5, s7
	s_sub_i32 s4, 1, s22
	s_mul_i32 s4, s21, s4
	s_cmp_lt_i32 s21, 1
	s_cselect_b32 s30, s4, 0
	s_mov_b64 s[4:5], 0
	s_and_saveexec_b64 s[6:7], vcc
	s_xor_b64 s[26:27], exec, s[6:7]
	s_cbranch_execnz .LBB14_4
; %bb.2:
	s_andn2_saveexec_b64 s[6:7], s[26:27]
	s_cbranch_execnz .LBB14_14
.LBB14_3:
	s_or_b64 exec, exec, s[6:7]
	s_and_b64 exec, exec, s[4:5]
	s_cbranch_execnz .LBB14_15
	s_branch .LBB14_17
.LBB14_4:
	s_lshl_b32 s31, s21, 10
	s_sub_i32 s6, 0, s31
	s_cmp_lt_i32 s31, 0
	s_cselect_b64 vcc, -1, 0
	s_and_b64 s[4:5], vcc, exec
	v_lshrrev_b32_e32 v5, 10, v4
	s_cselect_b32 s6, s6, s31
	v_mul_lo_u32 v1, v0, s21
	v_mul_hi_u32 v2, s6, v5
	v_add_u32_e32 v1, s30, v1
	v_cmp_eq_u32_e64 s[4:5], 0, v2
	v_mul_lo_u32 v2, s6, v5
	v_add_u32_e32 v3, v1, v2
	v_sub_u32_e32 v2, v1, v2
	v_cmp_gt_i32_e64 s[6:7], v2, v1
	s_nop 1
	v_cndmask_b32_e64 v2, 0, 1, s[6:7]
	v_cmp_lt_i32_e64 s[6:7], v3, v1
	s_nop 1
	v_cndmask_b32_e64 v1, 0, 1, s[6:7]
	v_cndmask_b32_e32 v1, v1, v2, vcc
	v_and_b32_e32 v1, 1, v1
	v_cmp_eq_u32_e32 vcc, 1, v1
	s_xor_b64 s[28:29], vcc, -1
	s_mov_b64 s[6:7], -1
	s_and_b64 s[28:29], s[28:29], s[4:5]
	v_mov_b32_e32 v1, v0
	s_and_saveexec_b64 s[4:5], s[28:29]
	s_cbranch_execz .LBB14_13
; %bb.5:
	v_add_u32_e32 v2, -1, v5
	v_or_b32_e32 v1, 0x400, v0
	v_lshrrev_b32_e32 v3, 1, v2
	s_mov_b32 s33, 0
	v_add_u32_e32 v6, 1, v3
	v_cmp_lt_u32_e32 vcc, 5, v2
	v_mov_b32_e32 v9, 0
	v_mov_b64_e32 v[2:3], v[0:1]
	s_and_saveexec_b64 s[6:7], vcc
	s_cbranch_execz .LBB14_9
; %bb.6:
	v_and_b32_e32 v7, -4, v6
	v_lshlrev_b32_e32 v8, 2, v0
	s_mov_b64 s[28:29], 0
	v_mov_b64_e32 v[2:3], v[0:1]
.LBB14_7:                               ; =>This Inner Loop Header: Depth=1
	v_mul_lo_u32 v9, v2, s21
	v_mul_lo_u32 v1, v3, s21
	v_add_u32_e32 v10, s30, v9
	v_add_u32_e32 v12, s30, v1
	v_ashrrev_i32_e32 v11, 31, v10
	v_ashrrev_i32_e32 v13, 31, v12
	v_lshl_add_u64 v[10:11], v[10:11], 2, s[24:25]
	v_lshl_add_u64 v[12:13], v[12:13], 2, s[24:25]
	flat_load_dword v1, v[10:11]
	flat_load_dword v9, v[12:13]
	v_add_u32_e32 v10, 0x800, v2
	v_add_u32_e32 v11, 0x800, v3
	v_mul_lo_u32 v10, v10, s21
	v_mul_lo_u32 v11, v11, s21
	v_add_u32_e32 v10, s30, v10
	v_add_u32_e32 v12, s30, v11
	v_ashrrev_i32_e32 v11, 31, v10
	v_ashrrev_i32_e32 v13, 31, v12
	v_lshl_add_u64 v[10:11], v[10:11], 2, s[24:25]
	v_lshl_add_u64 v[12:13], v[12:13], 2, s[24:25]
	v_add_u32_e32 v7, -4, v7
	s_add_i32 s33, s33, 8
	v_cmp_eq_u32_e32 vcc, 0, v7
	s_or_b64 s[28:29], vcc, s[28:29]
	s_waitcnt vmcnt(0) lgkmcnt(0)
	ds_write2st64_b32 v8, v1, v9 offset1:16
	flat_load_dword v1, v[10:11]
	flat_load_dword v9, v[12:13]
	v_add_u32_e32 v10, 0x1000, v2
	v_add_u32_e32 v11, 0x1000, v3
	v_mul_lo_u32 v10, v10, s21
	v_mul_lo_u32 v11, v11, s21
	v_add_u32_e32 v10, s30, v10
	v_add_u32_e32 v12, s30, v11
	v_ashrrev_i32_e32 v11, 31, v10
	v_ashrrev_i32_e32 v13, 31, v12
	v_lshl_add_u64 v[10:11], v[10:11], 2, s[24:25]
	v_lshl_add_u64 v[12:13], v[12:13], 2, s[24:25]
	s_waitcnt vmcnt(0) lgkmcnt(0)
	ds_write2st64_b32 v8, v1, v9 offset0:32 offset1:48
	flat_load_dword v1, v[10:11]
	flat_load_dword v9, v[12:13]
	v_add_u32_e32 v10, 0x1800, v2
	v_add_u32_e32 v11, 0x1800, v3
	v_mul_lo_u32 v10, v10, s21
	v_mul_lo_u32 v11, v11, s21
	v_add_u32_e32 v10, s30, v10
	v_add_u32_e32 v12, s30, v11
	v_ashrrev_i32_e32 v11, 31, v10
	v_ashrrev_i32_e32 v13, 31, v12
	v_lshl_add_u64 v[10:11], v[10:11], 2, s[24:25]
	v_lshl_add_u64 v[12:13], v[12:13], 2, s[24:25]
	v_add_u32_e32 v3, 0x2000, v3
	v_add_u32_e32 v2, 0x2000, v2
	s_waitcnt vmcnt(0) lgkmcnt(0)
	ds_write2st64_b32 v8, v1, v9 offset0:64 offset1:80
	flat_load_dword v1, v[10:11]
	flat_load_dword v14, v[12:13]
	v_mov_b32_e32 v9, s33
	s_waitcnt vmcnt(0) lgkmcnt(0)
	ds_write2st64_b32 v8, v1, v14 offset0:96 offset1:112
	v_add_u32_e32 v8, 0x8000, v8
	s_andn2_b64 exec, exec, s[28:29]
	s_cbranch_execnz .LBB14_7
; %bb.8:
	s_or_b64 exec, exec, s[28:29]
.LBB14_9:
	s_or_b64 exec, exec, s[6:7]
	v_and_b32_e32 v1, 3, v6
	v_cmp_ne_u32_e32 vcc, 0, v1
	s_and_saveexec_b64 s[6:7], vcc
	s_cbranch_execz .LBB14_12
; %bb.10:
	v_lshlrev_b32_e32 v6, 2, v0
	v_lshl_or_b32 v6, v9, 12, v6
	s_mov_b64 s[28:29], 0
.LBB14_11:                              ; =>This Inner Loop Header: Depth=1
	v_mul_lo_u32 v8, v2, s21
	v_mul_lo_u32 v7, v3, s21
	v_add_u32_e32 v8, s30, v8
	v_add_u32_e32 v10, s30, v7
	v_ashrrev_i32_e32 v9, 31, v8
	v_ashrrev_i32_e32 v11, 31, v10
	v_lshl_add_u64 v[8:9], v[8:9], 2, s[24:25]
	v_lshl_add_u64 v[10:11], v[10:11], 2, s[24:25]
	flat_load_dword v7, v[8:9]
	flat_load_dword v12, v[10:11]
	v_add_u32_e32 v1, -1, v1
	v_cmp_eq_u32_e32 vcc, 0, v1
	v_add_u32_e32 v3, 0x800, v3
	v_add_u32_e32 v2, 0x800, v2
	s_or_b64 s[28:29], vcc, s[28:29]
	s_waitcnt vmcnt(0) lgkmcnt(0)
	ds_write2st64_b32 v6, v7, v12 offset1:16
	v_add_u32_e32 v6, 0x2000, v6
	s_andn2_b64 exec, exec, s[28:29]
	s_cbranch_execnz .LBB14_11
.LBB14_12:
	s_or_b64 exec, exec, s[6:7]
	v_add_u32_e32 v2, 1, v5
	v_and_b32_e32 v3, 0x7ffffe, v2
	v_cmp_ne_u32_e32 vcc, v2, v3
	v_lshl_or_b32 v1, v3, 10, v0
	s_orn2_b64 s[6:7], vcc, exec
.LBB14_13:
	s_or_b64 exec, exec, s[4:5]
	v_mov_b32_e32 v5, s31
	s_and_b64 s[4:5], s[6:7], exec
	s_andn2_saveexec_b64 s[6:7], s[26:27]
	s_cbranch_execz .LBB14_3
.LBB14_14:
	s_lshl_b32 s26, s21, 10
	v_mov_b32_e32 v5, s26
	s_or_b64 s[4:5], s[4:5], exec
	v_mov_b32_e32 v1, v0
	s_or_b64 exec, exec, s[6:7]
	s_and_b64 exec, exec, s[4:5]
	s_cbranch_execz .LBB14_17
.LBB14_15:
	v_mul_lo_u32 v2, v1, s21
	v_add_u32_e32 v2, s30, v2
	v_lshlrev_b32_e32 v6, 2, v1
	s_mov_b64 s[4:5], 0
.LBB14_16:                              ; =>This Inner Loop Header: Depth=1
	v_ashrrev_i32_e32 v3, 31, v2
	v_lshl_add_u64 v[8:9], v[2:3], 2, s[24:25]
	flat_load_dword v3, v[8:9]
	v_add_u32_e32 v1, 0x400, v1
	v_cmp_le_i32_e32 vcc, s22, v1
	v_add_u32_e32 v2, v2, v5
	s_or_b64 s[4:5], vcc, s[4:5]
	s_waitcnt vmcnt(0) lgkmcnt(0)
	ds_write_b32 v6, v3
	v_add_u32_e32 v6, 0x1000, v6
	s_andn2_b64 exec, exec, s[4:5]
	s_cbranch_execnz .LBB14_16
.LBB14_17:
	s_or_b64 exec, exec, s[16:17]
	s_cmp_ge_i32 s20, s23
	s_waitcnt lgkmcnt(0)
	s_barrier
	s_cbranch_scc1 .LBB14_55
; %bb.18:
	s_load_dword s21, s[0:1], 0x48
	s_lshl_b64 s[0:1], s[14:15], 2
	s_add_u32 s0, s12, s0
	s_mul_i32 s3, s10, s3
	s_mul_hi_u32 s4, s10, s2
	s_addc_u32 s1, s13, s1
	s_add_i32 s3, s4, s3
	s_mul_i32 s4, s11, s2
	s_add_i32 s3, s3, s4
	s_mul_i32 s2, s10, s2
	s_lshl_b64 s[2:3], s[2:3], 2
	s_add_u32 s24, s8, s2
	v_and_b32_e32 v1, 63, v0
	s_addc_u32 s25, s9, s3
	v_cmp_eq_u32_e64 s[2:3], 0, v1
	v_lshrrev_b32_e32 v1, 10, v4
	v_add_u32_e32 v3, -1, v1
	v_add_u32_e32 v2, 1, v1
	v_lshrrev_b32_e32 v1, 1, v3
	s_movk_i32 s8, 0x1bff
	s_movk_i32 s10, 0x3ff
	s_cmp_gt_i32 s22, 1
	v_add_u32_e32 v5, 1, v1
	v_cmp_lt_u32_e64 s[8:9], s8, v4
	v_cmp_lt_u32_e64 s[10:11], s10, v4
	v_and_b32_e32 v4, 0x7ffffe, v2
	s_cselect_b64 s[26:27], -1, 0
	v_lshl_or_b32 v15, v4, 10, v0
	v_and_b32_e32 v16, 3, v5
	v_and_b32_e32 v17, -4, v5
	v_cmp_ne_u32_e64 s[16:17], v2, v4
	v_mov_b32_e32 v5, 0
	s_waitcnt lgkmcnt(0)
	s_lshl_b32 s33, s21, 6
	v_mbcnt_lo_u32_b32 v4, -1, 0
	v_and_b32_e32 v8, 7, v2
	v_cmp_lt_u32_e64 s[12:13], 5, v3
	v_lshlrev_b32_e32 v2, 2, v0
	v_mov_b32_e32 v3, v5
	s_add_u32 s46, s0, 0x7000
	v_mbcnt_hi_u32_b32 v25, -1, v4
	v_mov_b32_e32 v4, 0x80
	v_lshrrev_b32_e32 v14, 4, v0
	v_cmp_eq_u32_e64 s[4:5], 0, v0
	v_cmp_ne_u32_e64 s[6:7], 0, v8
	v_or_b32_e32 v1, 0x400, v0
	v_cmp_ne_u32_e64 s[14:15], 0, v16
	v_lshl_add_u64 v[6:7], s[0:1], 0, v[2:3]
	s_mul_i32 s28, s20, s21
	v_lshlrev_b32_e32 v3, 2, v8
	s_addc_u32 s47, s1, 0
	s_mov_b64 s[30:31], 0x1000
	s_mov_b64 s[34:35], 0x8000
	v_mov_b32_e32 v18, 0x2004
	v_mov_b32_e32 v19, 0x200c
	;; [unrolled: 1-line block ×7, first 2 shown]
	v_and_b32_e32 v26, 63, v25
	v_lshl_or_b32 v27, v25, 2, v4
	s_branch .LBB14_20
.LBB14_19:                              ;   in Loop: Header=BB14_20 Depth=1
	s_or_b64 exec, exec, s[38:39]
	s_add_i32 s20, s20, 64
	s_add_i32 s28, s28, s33
	s_cmp_ge_i32 s20, s23
	s_cbranch_scc1 .LBB14_55
.LBB14_20:                              ; =>This Loop Header: Depth=1
                                        ;     Child Loop BB14_23 Depth 2
                                        ;     Child Loop BB14_27 Depth 2
	;; [unrolled: 1-line block ×5, first 2 shown]
	s_ashr_i32 s29, s28, 31
	s_lshl_b64 s[36:37], s[28:29], 2
	v_mov_b32_e32 v10, 0
	s_and_saveexec_b64 s[38:39], s[18:19]
	s_cbranch_execz .LBB14_30
; %bb.21:                               ;   in Loop: Header=BB14_20 Depth=1
	v_mov_b32_e32 v10, 0
	v_mov_b32_e32 v4, v0
	s_and_saveexec_b64 s[40:41], s[6:7]
	s_cbranch_execz .LBB14_25
; %bb.22:                               ;   in Loop: Header=BB14_20 Depth=1
	v_lshl_add_u64 v[8:9], v[6:7], 0, s[36:37]
	v_mov_b32_e32 v10, 0
	s_mov_b64 s[42:43], 0
	v_mov_b32_e32 v11, v3
	v_mov_b32_e32 v12, v2
	;; [unrolled: 1-line block ×3, first 2 shown]
.LBB14_23:                              ;   Parent Loop BB14_20 Depth=1
                                        ; =>  This Inner Loop Header: Depth=2
	flat_load_dword v13, v[8:9]
	ds_read_b32 v28, v12
	v_add_u32_e32 v11, -4, v11
	v_cmp_eq_u32_e32 vcc, 0, v11
	v_add_u32_e32 v4, 0x400, v4
	v_add_u32_e32 v12, 0x1000, v12
	v_lshl_add_u64 v[8:9], v[8:9], 0, s[30:31]
	s_or_b64 s[42:43], vcc, s[42:43]
	s_waitcnt vmcnt(0) lgkmcnt(0)
	v_fmac_f32_e32 v10, v28, v13
	s_andn2_b64 exec, exec, s[42:43]
	s_cbranch_execnz .LBB14_23
; %bb.24:                               ;   in Loop: Header=BB14_20 Depth=1
	s_or_b64 exec, exec, s[42:43]
.LBB14_25:                              ;   in Loop: Header=BB14_20 Depth=1
	s_or_b64 exec, exec, s[40:41]
	s_and_saveexec_b64 s[40:41], s[8:9]
	s_cbranch_execz .LBB14_29
; %bb.26:                               ;   in Loop: Header=BB14_20 Depth=1
	s_add_u32 s42, s46, s36
	s_addc_u32 s43, s47, s37
	v_lshl_add_u64 v[8:9], v[4:5], 2, s[42:43]
	v_lshlrev_b32_e32 v11, 2, v4
	s_mov_b64 s[42:43], 0
.LBB14_27:                              ;   Parent Loop BB14_20 Depth=1
                                        ; =>  This Inner Loop Header: Depth=2
	v_add_co_u32_e32 v12, vcc, 0xffff9000, v8
	v_add_u32_e32 v4, 0x2000, v4
	s_nop 0
	v_addc_co_u32_e32 v13, vcc, -1, v9, vcc
	v_add_co_u32_e32 v28, vcc, 0xffffa000, v8
	flat_load_dword v34, v[12:13]
	s_nop 0
	v_addc_co_u32_e32 v29, vcc, -1, v9, vcc
	v_add_co_u32_e32 v12, vcc, 0xffffb000, v8
	s_nop 1
	v_addc_co_u32_e32 v13, vcc, -1, v9, vcc
	v_add_co_u32_e32 v30, vcc, 0xffffc000, v8
	flat_load_dword v35, v[28:29]
	flat_load_dword v36, v[12:13]
	v_addc_co_u32_e32 v31, vcc, -1, v9, vcc
	v_add_co_u32_e32 v12, vcc, 0xffffd000, v8
	s_nop 1
	v_addc_co_u32_e32 v13, vcc, -1, v9, vcc
	v_add_co_u32_e32 v28, vcc, 0xffffe000, v8
	flat_load_dword v37, v[30:31]
	flat_load_dword v38, v[12:13]
	v_addc_co_u32_e32 v29, vcc, -1, v9, vcc
	v_add_co_u32_e32 v12, vcc, 0xfffff000, v8
	s_nop 1
	v_addc_co_u32_e32 v13, vcc, -1, v9, vcc
	flat_load_dword v39, v[28:29]
	flat_load_dword v40, v[12:13]
	;; [unrolled: 1-line block ×3, first 2 shown]
	ds_read2st64_b32 v[12:13], v11 offset1:16
	ds_read2st64_b32 v[28:29], v11 offset0:32 offset1:48
	ds_read2st64_b32 v[30:31], v11 offset0:64 offset1:80
	;; [unrolled: 1-line block ×3, first 2 shown]
	v_cmp_le_i32_e32 vcc, s22, v4
	v_add_u32_e32 v11, 0x8000, v11
	s_or_b64 s[42:43], vcc, s[42:43]
	v_lshl_add_u64 v[8:9], v[8:9], 0, s[34:35]
	s_waitcnt vmcnt(0) lgkmcnt(0)
	v_fmac_f32_e32 v10, v12, v34
	v_fmac_f32_e32 v10, v13, v35
	;; [unrolled: 1-line block ×8, first 2 shown]
	s_andn2_b64 exec, exec, s[42:43]
	s_cbranch_execnz .LBB14_27
; %bb.28:                               ;   in Loop: Header=BB14_20 Depth=1
	s_or_b64 exec, exec, s[42:43]
.LBB14_29:                              ;   in Loop: Header=BB14_20 Depth=1
	s_or_b64 exec, exec, s[40:41]
.LBB14_30:                              ;   in Loop: Header=BB14_20 Depth=1
	s_or_b64 exec, exec, s[38:39]
	s_and_b64 vcc, exec, s[26:27]
	s_cbranch_vccz .LBB14_37
; %bb.31:                               ;   in Loop: Header=BB14_20 Depth=1
	v_cmp_ne_u32_e32 vcc, 63, v26
	s_nop 1
	v_addc_co_u32_e32 v4, vcc, 0, v25, vcc
	v_lshlrev_b32_e32 v4, 2, v4
	ds_bpermute_b32 v4, v4, v10
	v_cmp_gt_u32_e32 vcc, 62, v26
	s_waitcnt lgkmcnt(0)
	v_add_f32_e32 v4, v10, v4
	v_cndmask_b32_e64 v8, 0, 2, vcc
	v_add_lshl_u32 v8, v8, v25, 2
	ds_bpermute_b32 v8, v8, v4
	v_cmp_gt_u32_e32 vcc, 60, v26
	s_waitcnt lgkmcnt(0)
	v_add_f32_e32 v4, v4, v8
	v_cndmask_b32_e64 v9, 0, 4, vcc
	v_add_lshl_u32 v9, v9, v25, 2
	;; [unrolled: 6-line block ×4, first 2 shown]
	ds_bpermute_b32 v8, v8, v4
	s_waitcnt lgkmcnt(0)
	v_add_f32_e32 v4, v4, v8
	ds_bpermute_b32 v8, v27, v4
	s_waitcnt lgkmcnt(0)
	v_add_f32_e32 v4, v4, v8
	s_and_saveexec_b64 s[38:39], s[2:3]
; %bb.32:                               ;   in Loop: Header=BB14_20 Depth=1
	ds_write_b32 v14, v4 offset:8192
; %bb.33:                               ;   in Loop: Header=BB14_20 Depth=1
	s_or_b64 exec, exec, s[38:39]
	s_mov_b64 s[40:41], 0
	s_mov_b64 s[38:39], 0
	s_waitcnt lgkmcnt(0)
	s_barrier
                                        ; implicit-def: $vgpr8
	s_and_saveexec_b64 s[42:43], s[4:5]
	s_xor_b64 s[42:43], exec, s[42:43]
	s_cbranch_execz .LBB14_35
; %bb.34:                               ;   in Loop: Header=BB14_20 Depth=1
	ds_read2_b32 v[8:9], v18 offset1:1
	ds_read2_b32 v[12:13], v19 offset1:1
	;; [unrolled: 1-line block ×4, first 2 shown]
	s_mov_b64 s[38:39], exec
	s_waitcnt lgkmcnt(0)
	v_add_f32_e32 v4, v4, v8
	v_add_f32_e32 v4, v4, v9
	s_waitcnt lgkmcnt(2)
	v_add_f32_e32 v4, v4, v12
	v_add_f32_e32 v4, v4, v13
	ds_read2_b32 v[8:9], v22 offset1:1
	s_waitcnt lgkmcnt(2)
	v_add_f32_e32 v4, v4, v28
	v_add_f32_e32 v4, v4, v29
	s_waitcnt lgkmcnt(1)
	v_add_f32_e32 v4, v4, v30
	v_add_f32_e32 v4, v4, v31
	ds_read2_b32 v[12:13], v23 offset1:1
	ds_read2_b32 v[28:29], v24 offset1:1
	ds_read_b32 v11, v5 offset:8252
	s_waitcnt lgkmcnt(0)
	v_add_f32_e32 v4, v4, v8
	v_add_f32_e32 v4, v4, v9
	s_waitcnt lgkmcnt(2)
	v_add_f32_e32 v4, v4, v12
	v_add_f32_e32 v4, v4, v13
	s_waitcnt lgkmcnt(1)
	v_add_f32_e32 v4, v4, v28
	v_add_f32_e32 v4, v4, v29
	s_waitcnt lgkmcnt(0)
	v_add_f32_e32 v8, v4, v11
.LBB14_35:                              ;   in Loop: Header=BB14_20 Depth=1
	s_or_b64 exec, exec, s[42:43]
	s_and_b64 vcc, exec, s[40:41]
	s_cbranch_vccnz .LBB14_38
.LBB14_36:                              ;   in Loop: Header=BB14_20 Depth=1
	v_mov_b32_e32 v10, v8
	s_and_saveexec_b64 s[40:41], s[38:39]
	s_cbranch_execnz .LBB14_39
	s_branch .LBB14_40
.LBB14_37:                              ;   in Loop: Header=BB14_20 Depth=1
	s_mov_b64 s[38:39], 0
                                        ; implicit-def: $vgpr8
	s_cbranch_execz .LBB14_36
.LBB14_38:                              ;   in Loop: Header=BB14_20 Depth=1
	s_andn2_b64 s[38:39], s[38:39], exec
	s_and_b64 s[40:41], s[4:5], exec
	s_or_b64 s[38:39], s[38:39], s[40:41]
	s_and_saveexec_b64 s[40:41], s[38:39]
.LBB14_39:                              ;   in Loop: Header=BB14_20 Depth=1
	ds_write_b32 v5, v10 offset:8192
.LBB14_40:                              ;   in Loop: Header=BB14_20 Depth=1
	s_or_b64 exec, exec, s[40:41]
	s_waitcnt lgkmcnt(0)
	s_barrier
	s_and_saveexec_b64 s[38:39], s[18:19]
	s_cbranch_execz .LBB14_19
; %bb.41:                               ;   in Loop: Header=BB14_20 Depth=1
	global_load_dword v4, v5, s[24:25]
	ds_read_b32 v8, v5 offset:8192
	s_mov_b64 s[42:43], -1
	v_mov_b32_e32 v10, v0
	s_waitcnt vmcnt(0) lgkmcnt(0)
	v_mul_f32_e64 v8, v8, -v4
	v_mov_b32_e32 v4, v2
	s_and_saveexec_b64 s[40:41], s[10:11]
	s_cbranch_execz .LBB14_52
; %bb.42:                               ;   in Loop: Header=BB14_20 Depth=1
	s_mul_i32 s29, s20, s21
	v_mov_b32_e32 v9, v8
	v_mov_b32_e32 v13, 0
	v_mov_b64_e32 v[10:11], v[0:1]
	s_and_saveexec_b64 s[42:43], s[12:13]
	s_cbranch_execz .LBB14_46
; %bb.43:                               ;   in Loop: Header=BB14_20 Depth=1
	s_add_i32 s48, s29, 0x800
	s_add_i32 s50, s29, 0x1000
	;; [unrolled: 1-line block ×3, first 2 shown]
	s_mov_b32 s49, s48
	s_mov_b32 s51, s50
	;; [unrolled: 1-line block ×4, first 2 shown]
	s_mov_b64 s[44:45], 0
	v_mov_b32_e32 v4, v17
	v_mov_b32_e32 v12, v2
	v_mov_b64_e32 v[10:11], v[0:1]
.LBB14_44:                              ;   Parent Loop BB14_20 Depth=1
                                        ; =>  This Inner Loop Header: Depth=2
	v_add_u32_e32 v28, s29, v10
	v_add_u32_e32 v30, s29, v11
	v_ashrrev_i32_e32 v29, 31, v28
	v_ashrrev_i32_e32 v31, 31, v30
	v_lshl_add_u64 v[28:29], v[28:29], 2, s[0:1]
	v_lshl_add_u64 v[30:31], v[30:31], 2, s[0:1]
	flat_load_dword v32, v[28:29]
	flat_load_dword v33, v[30:31]
	ds_read2st64_b32 v[34:35], v12 offset1:16
	v_add_u32_e32 v36, s48, v10
	v_add_u32_e32 v38, s49, v11
	v_ashrrev_i32_e32 v37, 31, v36
	v_ashrrev_i32_e32 v39, 31, v38
	v_lshl_add_u64 v[36:37], v[36:37], 2, s[0:1]
	v_lshl_add_u64 v[38:39], v[38:39], 2, s[0:1]
	v_add_u32_e32 v4, -4, v4
	s_add_i32 s54, s54, 8
	v_cmp_eq_u32_e32 vcc, 0, v4
	v_mov_b32_e32 v13, s54
	s_or_b64 s[44:45], vcc, s[44:45]
	s_waitcnt vmcnt(0) lgkmcnt(0)
	v_pk_fma_f32 v[32:33], v[8:9], v[34:35], v[32:33]
	flat_store_dword v[28:29], v32
	flat_store_dword v[30:31], v33
	flat_load_dword v28, v[36:37]
	s_nop 0
	flat_load_dword v29, v[38:39]
	ds_read2st64_b32 v[34:35], v12 offset0:32 offset1:48
	v_add_u32_e32 v30, s50, v10
	v_add_u32_e32 v32, s51, v11
	v_ashrrev_i32_e32 v31, 31, v30
	v_ashrrev_i32_e32 v33, 31, v32
	v_lshl_add_u64 v[30:31], v[30:31], 2, s[0:1]
	v_lshl_add_u64 v[32:33], v[32:33], 2, s[0:1]
	s_waitcnt vmcnt(0) lgkmcnt(0)
	v_pk_fma_f32 v[28:29], v[8:9], v[34:35], v[28:29]
	flat_store_dword v[36:37], v28
	flat_store_dword v[38:39], v29
	flat_load_dword v28, v[30:31]
	s_nop 0
	flat_load_dword v29, v[32:33]
	ds_read2st64_b32 v[38:39], v12 offset0:64 offset1:80
	v_add_u32_e32 v34, s52, v10
	v_add_u32_e32 v36, s53, v11
	v_ashrrev_i32_e32 v35, 31, v34
	v_ashrrev_i32_e32 v37, 31, v36
	v_lshl_add_u64 v[34:35], v[34:35], 2, s[0:1]
	v_lshl_add_u64 v[36:37], v[36:37], 2, s[0:1]
	v_add_u32_e32 v11, 0x2000, v11
	v_add_u32_e32 v10, 0x2000, v10
	s_waitcnt vmcnt(0) lgkmcnt(0)
	v_pk_fma_f32 v[28:29], v[8:9], v[38:39], v[28:29]
	flat_store_dword v[30:31], v28
	flat_store_dword v[32:33], v29
	flat_load_dword v28, v[34:35]
	s_nop 0
	flat_load_dword v29, v[36:37]
	ds_read2st64_b32 v[30:31], v12 offset0:96 offset1:112
	v_add_u32_e32 v12, 0x8000, v12
	s_waitcnt vmcnt(0) lgkmcnt(0)
	v_pk_fma_f32 v[28:29], v[8:9], v[30:31], v[28:29]
	flat_store_dword v[34:35], v28
	flat_store_dword v[36:37], v29
	s_andn2_b64 exec, exec, s[44:45]
	s_cbranch_execnz .LBB14_44
; %bb.45:                               ;   in Loop: Header=BB14_20 Depth=1
	s_or_b64 exec, exec, s[44:45]
.LBB14_46:                              ;   in Loop: Header=BB14_20 Depth=1
	s_or_b64 exec, exec, s[42:43]
	s_and_saveexec_b64 s[42:43], s[14:15]
	s_cbranch_execz .LBB14_49
; %bb.47:                               ;   in Loop: Header=BB14_20 Depth=1
	v_lshl_or_b32 v4, v13, 12, v2
	s_mov_b64 s[44:45], 0
	v_mov_b32_e32 v12, v16
.LBB14_48:                              ;   Parent Loop BB14_20 Depth=1
                                        ; =>  This Inner Loop Header: Depth=2
	v_add_u32_e32 v28, s29, v10
	v_add_u32_e32 v30, s29, v11
	v_ashrrev_i32_e32 v29, 31, v28
	v_ashrrev_i32_e32 v31, 31, v30
	v_lshl_add_u64 v[28:29], v[28:29], 2, s[0:1]
	v_lshl_add_u64 v[30:31], v[30:31], 2, s[0:1]
	flat_load_dword v32, v[28:29]
	flat_load_dword v33, v[30:31]
	ds_read2st64_b32 v[34:35], v4 offset1:16
	v_add_u32_e32 v12, -1, v12
	v_cmp_eq_u32_e32 vcc, 0, v12
	v_add_u32_e32 v11, 0x800, v11
	v_add_u32_e32 v10, 0x800, v10
	;; [unrolled: 1-line block ×3, first 2 shown]
	s_or_b64 s[44:45], vcc, s[44:45]
	s_waitcnt vmcnt(0) lgkmcnt(0)
	v_pk_fma_f32 v[32:33], v[8:9], v[34:35], v[32:33]
	flat_store_dword v[28:29], v32
	flat_store_dword v[30:31], v33
	s_andn2_b64 exec, exec, s[44:45]
	s_cbranch_execnz .LBB14_48
.LBB14_49:                              ;   in Loop: Header=BB14_20 Depth=1
	s_or_b64 exec, exec, s[42:43]
	s_mov_b64 s[42:43], 0
                                        ; implicit-def: $vgpr4
	s_and_saveexec_b64 s[44:45], s[16:17]
; %bb.50:                               ;   in Loop: Header=BB14_20 Depth=1
	s_mov_b64 s[42:43], exec
	v_lshlrev_b32_e32 v4, 2, v15
; %bb.51:                               ;   in Loop: Header=BB14_20 Depth=1
	s_or_b64 exec, exec, s[44:45]
	s_orn2_b64 s[42:43], s[42:43], exec
	v_mov_b32_e32 v10, v15
.LBB14_52:                              ;   in Loop: Header=BB14_20 Depth=1
	s_or_b64 exec, exec, s[40:41]
	s_and_b64 exec, exec, s[42:43]
	s_cbranch_execz .LBB14_19
; %bb.53:                               ;   in Loop: Header=BB14_20 Depth=1
	s_add_u32 s36, s0, s36
	v_ashrrev_i32_e32 v11, 31, v10
	s_addc_u32 s37, s1, s37
	v_lshl_add_u64 v[12:13], v[10:11], 2, s[36:37]
	s_mov_b64 s[36:37], 0
.LBB14_54:                              ;   Parent Loop BB14_20 Depth=1
                                        ; =>  This Inner Loop Header: Depth=2
	flat_load_dword v9, v[12:13]
	ds_read_b32 v11, v4
	v_add_u32_e32 v10, 0x400, v10
	v_cmp_le_i32_e32 vcc, s22, v10
	s_or_b64 s[36:37], vcc, s[36:37]
	v_add_u32_e32 v4, 0x1000, v4
	s_waitcnt vmcnt(0) lgkmcnt(0)
	v_fmac_f32_e32 v9, v8, v11
	flat_store_dword v[12:13], v9
	v_lshl_add_u64 v[12:13], v[12:13], 0, s[30:31]
	s_andn2_b64 exec, exec, s[36:37]
	s_cbranch_execnz .LBB14_54
	s_branch .LBB14_19
.LBB14_55:
	s_endpgm
	.section	.rodata,"a",@progbits
	.p2align	6, 0x0
	.amdhsa_kernel _ZN9rocsolver6v33100L22larf_left_kernel_smallILi1024EfiPKPfEEvT1_S5_T2_lS5_lPKT0_lS6_lS5_l
		.amdhsa_group_segment_fixed_size 12288
		.amdhsa_private_segment_fixed_size 0
		.amdhsa_kernarg_size 88
		.amdhsa_user_sgpr_count 2
		.amdhsa_user_sgpr_dispatch_ptr 0
		.amdhsa_user_sgpr_queue_ptr 0
		.amdhsa_user_sgpr_kernarg_segment_ptr 1
		.amdhsa_user_sgpr_dispatch_id 0
		.amdhsa_user_sgpr_kernarg_preload_length 0
		.amdhsa_user_sgpr_kernarg_preload_offset 0
		.amdhsa_user_sgpr_private_segment_size 0
		.amdhsa_uses_dynamic_stack 0
		.amdhsa_enable_private_segment 0
		.amdhsa_system_sgpr_workgroup_id_x 1
		.amdhsa_system_sgpr_workgroup_id_y 1
		.amdhsa_system_sgpr_workgroup_id_z 0
		.amdhsa_system_sgpr_workgroup_info 0
		.amdhsa_system_vgpr_workitem_id 0
		.amdhsa_next_free_vgpr 42
		.amdhsa_next_free_sgpr 55
		.amdhsa_accum_offset 44
		.amdhsa_reserve_vcc 1
		.amdhsa_float_round_mode_32 0
		.amdhsa_float_round_mode_16_64 0
		.amdhsa_float_denorm_mode_32 3
		.amdhsa_float_denorm_mode_16_64 3
		.amdhsa_dx10_clamp 1
		.amdhsa_ieee_mode 1
		.amdhsa_fp16_overflow 0
		.amdhsa_tg_split 0
		.amdhsa_exception_fp_ieee_invalid_op 0
		.amdhsa_exception_fp_denorm_src 0
		.amdhsa_exception_fp_ieee_div_zero 0
		.amdhsa_exception_fp_ieee_overflow 0
		.amdhsa_exception_fp_ieee_underflow 0
		.amdhsa_exception_fp_ieee_inexact 0
		.amdhsa_exception_int_div_zero 0
	.end_amdhsa_kernel
	.section	.text._ZN9rocsolver6v33100L22larf_left_kernel_smallILi1024EfiPKPfEEvT1_S5_T2_lS5_lPKT0_lS6_lS5_l,"axG",@progbits,_ZN9rocsolver6v33100L22larf_left_kernel_smallILi1024EfiPKPfEEvT1_S5_T2_lS5_lPKT0_lS6_lS5_l,comdat
.Lfunc_end14:
	.size	_ZN9rocsolver6v33100L22larf_left_kernel_smallILi1024EfiPKPfEEvT1_S5_T2_lS5_lPKT0_lS6_lS5_l, .Lfunc_end14-_ZN9rocsolver6v33100L22larf_left_kernel_smallILi1024EfiPKPfEEvT1_S5_T2_lS5_lPKT0_lS6_lS5_l
                                        ; -- End function
	.set _ZN9rocsolver6v33100L22larf_left_kernel_smallILi1024EfiPKPfEEvT1_S5_T2_lS5_lPKT0_lS6_lS5_l.num_vgpr, 42
	.set _ZN9rocsolver6v33100L22larf_left_kernel_smallILi1024EfiPKPfEEvT1_S5_T2_lS5_lPKT0_lS6_lS5_l.num_agpr, 0
	.set _ZN9rocsolver6v33100L22larf_left_kernel_smallILi1024EfiPKPfEEvT1_S5_T2_lS5_lPKT0_lS6_lS5_l.numbered_sgpr, 55
	.set _ZN9rocsolver6v33100L22larf_left_kernel_smallILi1024EfiPKPfEEvT1_S5_T2_lS5_lPKT0_lS6_lS5_l.num_named_barrier, 0
	.set _ZN9rocsolver6v33100L22larf_left_kernel_smallILi1024EfiPKPfEEvT1_S5_T2_lS5_lPKT0_lS6_lS5_l.private_seg_size, 0
	.set _ZN9rocsolver6v33100L22larf_left_kernel_smallILi1024EfiPKPfEEvT1_S5_T2_lS5_lPKT0_lS6_lS5_l.uses_vcc, 1
	.set _ZN9rocsolver6v33100L22larf_left_kernel_smallILi1024EfiPKPfEEvT1_S5_T2_lS5_lPKT0_lS6_lS5_l.uses_flat_scratch, 0
	.set _ZN9rocsolver6v33100L22larf_left_kernel_smallILi1024EfiPKPfEEvT1_S5_T2_lS5_lPKT0_lS6_lS5_l.has_dyn_sized_stack, 0
	.set _ZN9rocsolver6v33100L22larf_left_kernel_smallILi1024EfiPKPfEEvT1_S5_T2_lS5_lPKT0_lS6_lS5_l.has_recursion, 0
	.set _ZN9rocsolver6v33100L22larf_left_kernel_smallILi1024EfiPKPfEEvT1_S5_T2_lS5_lPKT0_lS6_lS5_l.has_indirect_call, 0
	.section	.AMDGPU.csdata,"",@progbits
; Kernel info:
; codeLenInByte = 3308
; TotalNumSgprs: 61
; NumVgprs: 42
; NumAgprs: 0
; TotalNumVgprs: 42
; ScratchSize: 0
; MemoryBound: 0
; FloatMode: 240
; IeeeMode: 1
; LDSByteSize: 12288 bytes/workgroup (compile time only)
; SGPRBlocks: 7
; VGPRBlocks: 5
; NumSGPRsForWavesPerEU: 61
; NumVGPRsForWavesPerEU: 42
; AccumOffset: 44
; Occupancy: 8
; WaveLimiterHint : 1
; COMPUTE_PGM_RSRC2:SCRATCH_EN: 0
; COMPUTE_PGM_RSRC2:USER_SGPR: 2
; COMPUTE_PGM_RSRC2:TRAP_HANDLER: 0
; COMPUTE_PGM_RSRC2:TGID_X_EN: 1
; COMPUTE_PGM_RSRC2:TGID_Y_EN: 1
; COMPUTE_PGM_RSRC2:TGID_Z_EN: 0
; COMPUTE_PGM_RSRC2:TIDIG_COMP_CNT: 0
; COMPUTE_PGM_RSRC3_GFX90A:ACCUM_OFFSET: 10
; COMPUTE_PGM_RSRC3_GFX90A:TG_SPLIT: 0
	.section	.text._ZN9rocsolver6v33100L23larf_right_kernel_smallILi64EfiPKPfEEvT1_S5_T2_lS5_lPKT0_lS6_lS5_l,"axG",@progbits,_ZN9rocsolver6v33100L23larf_right_kernel_smallILi64EfiPKPfEEvT1_S5_T2_lS5_lPKT0_lS6_lS5_l,comdat
	.globl	_ZN9rocsolver6v33100L23larf_right_kernel_smallILi64EfiPKPfEEvT1_S5_T2_lS5_lPKT0_lS6_lS5_l ; -- Begin function _ZN9rocsolver6v33100L23larf_right_kernel_smallILi64EfiPKPfEEvT1_S5_T2_lS5_lPKT0_lS6_lS5_l
	.p2align	8
	.type	_ZN9rocsolver6v33100L23larf_right_kernel_smallILi64EfiPKPfEEvT1_S5_T2_lS5_lPKT0_lS6_lS5_l,@function
_ZN9rocsolver6v33100L23larf_right_kernel_smallILi64EfiPKPfEEvT1_S5_T2_lS5_lPKT0_lS6_lS5_l: ; @_ZN9rocsolver6v33100L23larf_right_kernel_smallILi64EfiPKPfEEvT1_S5_T2_lS5_lPKT0_lS6_lS5_l
; %bb.0:
	s_load_dwordx8 s[12:19], s[0:1], 0x28
	s_load_dwordx2 s[20:21], s[0:1], 0x0
	s_mov_b32 s10, s3
	s_ashr_i32 s3, s2, 31
	s_lshl_b64 s[6:7], s[2:3], 3
	s_waitcnt lgkmcnt(0)
	s_add_u32 s4, s16, s6
	s_addc_u32 s5, s17, s7
	s_load_dwordx2 s[16:17], s[4:5], 0x0
	v_cmp_gt_i32_e64 s[4:5], s21, v0
	s_and_saveexec_b64 s[22:23], s[4:5]
	s_cbranch_execz .LBB15_17
; %bb.1:
	s_load_dwordx4 s[24:27], s[0:1], 0x8
	s_load_dword s11, s[0:1], 0x18
	v_xad_u32 v2, v0, -1, s21
	s_movk_i32 s8, 0x5bf
	v_cmp_lt_u32_e32 vcc, s8, v2
	s_waitcnt lgkmcnt(0)
	s_add_u32 s6, s24, s6
	s_addc_u32 s7, s25, s7
	s_load_dwordx2 s[6:7], s[6:7], 0x0
	s_lshl_b64 s[8:9], s[26:27], 2
                                        ; implicit-def: $vgpr1
                                        ; implicit-def: $vgpr4
	s_waitcnt lgkmcnt(0)
	s_add_u32 s24, s6, s8
	s_addc_u32 s25, s7, s9
	s_sub_i32 s6, 1, s21
	s_mul_i32 s6, s11, s6
	s_cmp_lt_i32 s11, 1
	s_cselect_b32 s30, s6, 0
	s_mov_b64 s[6:7], 0
	s_and_saveexec_b64 s[8:9], vcc
	s_xor_b64 s[26:27], exec, s[8:9]
	s_cbranch_execnz .LBB15_4
; %bb.2:
	s_andn2_saveexec_b64 s[8:9], s[26:27]
	s_cbranch_execnz .LBB15_14
.LBB15_3:
	s_or_b64 exec, exec, s[8:9]
	s_and_b64 exec, exec, s[6:7]
	s_cbranch_execnz .LBB15_15
	s_branch .LBB15_17
.LBB15_4:
	s_lshl_b32 s31, s11, 6
	s_sub_i32 s8, 0, s31
	s_cmp_lt_i32 s31, 0
	s_cselect_b64 vcc, -1, 0
	s_and_b64 s[6:7], vcc, exec
	v_lshrrev_b32_e32 v4, 6, v2
	s_cselect_b32 s8, s8, s31
	v_mul_lo_u32 v1, v0, s11
	v_mul_hi_u32 v2, s8, v4
	v_add_u32_e32 v1, s30, v1
	v_cmp_eq_u32_e64 s[6:7], 0, v2
	v_mul_lo_u32 v2, s8, v4
	v_add_u32_e32 v3, v1, v2
	v_sub_u32_e32 v2, v1, v2
	v_cmp_gt_i32_e64 s[8:9], v2, v1
	s_nop 1
	v_cndmask_b32_e64 v2, 0, 1, s[8:9]
	v_cmp_lt_i32_e64 s[8:9], v3, v1
	s_nop 1
	v_cndmask_b32_e64 v1, 0, 1, s[8:9]
	v_cndmask_b32_e32 v1, v1, v2, vcc
	v_and_b32_e32 v1, 1, v1
	v_cmp_eq_u32_e32 vcc, 1, v1
	s_xor_b64 s[28:29], vcc, -1
	s_mov_b64 s[8:9], -1
	s_and_b64 s[28:29], s[28:29], s[6:7]
	v_mov_b32_e32 v1, v0
	s_and_saveexec_b64 s[6:7], s[28:29]
	s_cbranch_execz .LBB15_13
; %bb.5:
	v_add_u32_e32 v2, -1, v4
	v_or_b32_e32 v1, 64, v0
	v_lshrrev_b32_e32 v3, 1, v2
	s_mov_b32 s33, 0
	v_add_u32_e32 v5, 1, v3
	v_cmp_lt_u32_e32 vcc, 5, v2
	v_mov_b32_e32 v8, 0
	v_mov_b64_e32 v[2:3], v[0:1]
	s_and_saveexec_b64 s[8:9], vcc
	s_cbranch_execz .LBB15_9
; %bb.6:
	v_and_b32_e32 v6, -4, v5
	v_lshlrev_b32_e32 v7, 2, v0
	s_mov_b64 s[28:29], 0
	v_mov_b64_e32 v[2:3], v[0:1]
.LBB15_7:                               ; =>This Inner Loop Header: Depth=1
	v_mul_lo_u32 v8, v2, s11
	v_mul_lo_u32 v1, v3, s11
	v_add_u32_e32 v8, s30, v8
	v_add_u32_e32 v10, s30, v1
	v_ashrrev_i32_e32 v9, 31, v8
	v_ashrrev_i32_e32 v11, 31, v10
	v_lshl_add_u64 v[8:9], v[8:9], 2, s[24:25]
	v_lshl_add_u64 v[10:11], v[10:11], 2, s[24:25]
	flat_load_dword v1, v[8:9]
	flat_load_dword v12, v[10:11]
	v_add_u32_e32 v8, 0x80, v2
	v_add_u32_e32 v9, 0x80, v3
	v_mul_lo_u32 v8, v8, s11
	v_mul_lo_u32 v9, v9, s11
	v_add_u32_e32 v8, s30, v8
	v_add_u32_e32 v10, s30, v9
	v_ashrrev_i32_e32 v9, 31, v8
	v_ashrrev_i32_e32 v11, 31, v10
	v_lshl_add_u64 v[8:9], v[8:9], 2, s[24:25]
	v_lshl_add_u64 v[10:11], v[10:11], 2, s[24:25]
	v_add_u32_e32 v6, -4, v6
	s_add_i32 s33, s33, 8
	v_cmp_eq_u32_e32 vcc, 0, v6
	s_or_b64 s[28:29], vcc, s[28:29]
	s_waitcnt vmcnt(0) lgkmcnt(0)
	ds_write2st64_b32 v7, v1, v12 offset1:1
	flat_load_dword v1, v[8:9]
	flat_load_dword v12, v[10:11]
	v_add_u32_e32 v8, 0x100, v2
	v_add_u32_e32 v9, 0x100, v3
	v_mul_lo_u32 v8, v8, s11
	v_mul_lo_u32 v9, v9, s11
	v_add_u32_e32 v8, s30, v8
	v_add_u32_e32 v10, s30, v9
	v_ashrrev_i32_e32 v9, 31, v8
	v_ashrrev_i32_e32 v11, 31, v10
	v_lshl_add_u64 v[8:9], v[8:9], 2, s[24:25]
	v_lshl_add_u64 v[10:11], v[10:11], 2, s[24:25]
	s_waitcnt vmcnt(0) lgkmcnt(0)
	ds_write2st64_b32 v7, v1, v12 offset0:2 offset1:3
	flat_load_dword v1, v[8:9]
	flat_load_dword v12, v[10:11]
	v_add_u32_e32 v8, 0x180, v2
	v_add_u32_e32 v9, 0x180, v3
	v_mul_lo_u32 v8, v8, s11
	v_mul_lo_u32 v9, v9, s11
	v_add_u32_e32 v8, s30, v8
	v_add_u32_e32 v10, s30, v9
	v_ashrrev_i32_e32 v9, 31, v8
	v_ashrrev_i32_e32 v11, 31, v10
	v_lshl_add_u64 v[8:9], v[8:9], 2, s[24:25]
	v_lshl_add_u64 v[10:11], v[10:11], 2, s[24:25]
	v_add_u32_e32 v3, 0x200, v3
	v_add_u32_e32 v2, 0x200, v2
	s_waitcnt vmcnt(0) lgkmcnt(0)
	ds_write2st64_b32 v7, v1, v12 offset0:4 offset1:5
	flat_load_dword v1, v[8:9]
	flat_load_dword v12, v[10:11]
	v_mov_b32_e32 v8, s33
	s_waitcnt vmcnt(0) lgkmcnt(0)
	ds_write2st64_b32 v7, v1, v12 offset0:6 offset1:7
	v_add_u32_e32 v7, 0x800, v7
	s_andn2_b64 exec, exec, s[28:29]
	s_cbranch_execnz .LBB15_7
; %bb.8:
	s_or_b64 exec, exec, s[28:29]
.LBB15_9:
	s_or_b64 exec, exec, s[8:9]
	v_and_b32_e32 v1, 3, v5
	v_cmp_ne_u32_e32 vcc, 0, v1
	s_and_saveexec_b64 s[8:9], vcc
	s_cbranch_execz .LBB15_12
; %bb.10:
	v_lshlrev_b32_e32 v5, 2, v0
	v_lshl_or_b32 v5, v8, 8, v5
	s_mov_b64 s[28:29], 0
.LBB15_11:                              ; =>This Inner Loop Header: Depth=1
	v_mul_lo_u32 v6, v2, s11
	v_mul_lo_u32 v7, v3, s11
	v_add_u32_e32 v6, s30, v6
	v_add_u32_e32 v8, s30, v7
	v_ashrrev_i32_e32 v7, 31, v6
	v_ashrrev_i32_e32 v9, 31, v8
	v_lshl_add_u64 v[6:7], v[6:7], 2, s[24:25]
	v_lshl_add_u64 v[8:9], v[8:9], 2, s[24:25]
	flat_load_dword v10, v[6:7]
	flat_load_dword v11, v[8:9]
	v_add_u32_e32 v1, -1, v1
	v_cmp_eq_u32_e32 vcc, 0, v1
	v_add_u32_e32 v3, 0x80, v3
	v_add_u32_e32 v2, 0x80, v2
	s_or_b64 s[28:29], vcc, s[28:29]
	s_waitcnt vmcnt(0) lgkmcnt(0)
	ds_write2st64_b32 v5, v10, v11 offset1:1
	v_add_u32_e32 v5, 0x200, v5
	s_andn2_b64 exec, exec, s[28:29]
	s_cbranch_execnz .LBB15_11
.LBB15_12:
	s_or_b64 exec, exec, s[8:9]
	v_add_u32_e32 v2, 1, v4
	v_and_b32_e32 v3, 0x7fffffe, v2
	v_cmp_ne_u32_e32 vcc, v2, v3
	v_lshl_or_b32 v1, v3, 6, v0
	s_orn2_b64 s[8:9], vcc, exec
.LBB15_13:
	s_or_b64 exec, exec, s[6:7]
	v_mov_b32_e32 v4, s31
	s_and_b64 s[6:7], s[8:9], exec
	s_andn2_saveexec_b64 s[8:9], s[26:27]
	s_cbranch_execz .LBB15_3
.LBB15_14:
	s_lshl_b32 s26, s11, 6
	v_mov_b32_e32 v4, s26
	s_or_b64 s[6:7], s[6:7], exec
	v_mov_b32_e32 v1, v0
	s_or_b64 exec, exec, s[8:9]
	s_and_b64 exec, exec, s[6:7]
	s_cbranch_execz .LBB15_17
.LBB15_15:
	v_mul_lo_u32 v2, v1, s11
	v_add_u32_e32 v2, s30, v2
	v_lshlrev_b32_e32 v5, 2, v1
	s_mov_b64 s[6:7], 0
.LBB15_16:                              ; =>This Inner Loop Header: Depth=1
	v_ashrrev_i32_e32 v3, 31, v2
	v_lshl_add_u64 v[6:7], v[2:3], 2, s[24:25]
	flat_load_dword v3, v[6:7]
	v_add_u32_e32 v1, 64, v1
	v_cmp_le_i32_e32 vcc, s21, v1
	v_add_u32_e32 v2, v2, v4
	s_or_b64 s[6:7], vcc, s[6:7]
	s_waitcnt vmcnt(0) lgkmcnt(0)
	ds_write_b32 v5, v3
	v_add_u32_e32 v5, 0x100, v5
	s_andn2_b64 exec, exec, s[6:7]
	s_cbranch_execnz .LBB15_16
.LBB15_17:
	s_or_b64 exec, exec, s[22:23]
	s_cmp_ge_i32 s10, s20
	s_waitcnt lgkmcnt(0)
	; wave barrier
	s_cbranch_scc1 .LBB15_35
; %bb.18:
	s_load_dword s8, s[0:1], 0x48
	s_lshl_b64 s[0:1], s[18:19], 2
	s_add_u32 s16, s16, s0
	s_addc_u32 s17, s17, s1
	s_mul_i32 s0, s14, s3
	s_mul_hi_u32 s1, s14, s2
	s_add_i32 s0, s1, s0
	s_mul_i32 s1, s15, s2
	s_add_i32 s1, s0, s1
	s_mul_i32 s0, s14, s2
	s_lshl_b64 s[0:1], s[0:1], 2
	s_add_u32 s0, s12, s0
	s_addc_u32 s1, s13, s1
	v_mbcnt_lo_u32_b32 v2, -1, 0
	s_cmp_gt_i32 s21, 1
	v_mbcnt_hi_u32_b32 v7, -1, v2
	v_mov_b32_e32 v2, 0x80
	s_cselect_b64 s[2:3], -1, 0
	v_cmp_eq_u32_e64 s[6:7], 0, v0
	v_lshrrev_b32_e32 v1, 4, v0
	v_lshlrev_b32_e32 v4, 2, v0
	s_waitcnt lgkmcnt(0)
	v_mul_lo_u32 v5, v0, s8
	s_lshl_b32 s18, s8, 6
	v_mov_b32_e32 v6, 0
	v_and_b32_e32 v8, 63, v7
	v_lshl_or_b32 v9, v7, 2, v2
	s_branch .LBB15_20
.LBB15_19:                              ;   in Loop: Header=BB15_20 Depth=1
	s_or_b64 exec, exec, s[12:13]
	s_add_i32 s10, s10, 64
	s_cmp_ge_i32 s10, s20
	s_cbranch_scc1 .LBB15_35
.LBB15_20:                              ; =>This Loop Header: Depth=1
                                        ;     Child Loop BB15_22 Depth 2
                                        ;     Child Loop BB15_34 Depth 2
	s_ashr_i32 s11, s10, 31
	s_lshl_b64 s[8:9], s[10:11], 2
	s_add_u32 s8, s16, s8
	s_addc_u32 s9, s17, s9
	v_mov_b32_e32 v10, 0
	s_and_saveexec_b64 s[12:13], s[4:5]
	s_cbranch_execz .LBB15_24
; %bb.21:                               ;   in Loop: Header=BB15_20 Depth=1
	v_mov_b32_e32 v10, 0
	s_mov_b64 s[14:15], 0
	v_mov_b32_e32 v2, v5
	v_mov_b32_e32 v11, v4
	v_mov_b32_e32 v12, v0
.LBB15_22:                              ;   Parent Loop BB15_20 Depth=1
                                        ; =>  This Inner Loop Header: Depth=2
	v_ashrrev_i32_e32 v3, 31, v2
	v_lshl_add_u64 v[14:15], v[2:3], 2, s[8:9]
	flat_load_dword v3, v[14:15]
	ds_read_b32 v13, v11
	v_add_u32_e32 v12, 64, v12
	v_cmp_le_i32_e32 vcc, s21, v12
	v_add_u32_e32 v11, 0x100, v11
	v_add_u32_e32 v2, s18, v2
	s_or_b64 s[14:15], vcc, s[14:15]
	s_waitcnt vmcnt(0) lgkmcnt(0)
	v_fmac_f32_e32 v10, v13, v3
	s_andn2_b64 exec, exec, s[14:15]
	s_cbranch_execnz .LBB15_22
; %bb.23:                               ;   in Loop: Header=BB15_20 Depth=1
	s_or_b64 exec, exec, s[14:15]
.LBB15_24:                              ;   in Loop: Header=BB15_20 Depth=1
	s_or_b64 exec, exec, s[12:13]
	s_and_b64 vcc, exec, s[2:3]
	s_cbranch_vccz .LBB15_29
; %bb.25:                               ;   in Loop: Header=BB15_20 Depth=1
	v_cmp_ne_u32_e32 vcc, 63, v8
	s_nop 1
	v_addc_co_u32_e32 v2, vcc, 0, v7, vcc
	v_lshlrev_b32_e32 v2, 2, v2
	ds_bpermute_b32 v2, v2, v10
	v_cmp_gt_u32_e32 vcc, 62, v8
	s_waitcnt lgkmcnt(0)
	v_add_f32_e32 v2, v10, v2
	v_cndmask_b32_e64 v3, 0, 2, vcc
	v_add_lshl_u32 v3, v3, v7, 2
	ds_bpermute_b32 v3, v3, v2
	v_cmp_gt_u32_e32 vcc, 60, v8
	s_waitcnt lgkmcnt(0)
	v_add_f32_e32 v2, v2, v3
	v_cndmask_b32_e64 v11, 0, 4, vcc
	v_add_lshl_u32 v11, v11, v7, 2
	ds_bpermute_b32 v3, v11, v2
	v_cmp_gt_u32_e32 vcc, 56, v8
	s_waitcnt lgkmcnt(0)
	v_add_f32_e32 v2, v2, v3
	v_cndmask_b32_e64 v11, 0, 8, vcc
	v_add_lshl_u32 v11, v11, v7, 2
	ds_bpermute_b32 v3, v11, v2
	v_cmp_gt_u32_e32 vcc, 48, v8
	s_waitcnt lgkmcnt(0)
	v_add_f32_e32 v2, v2, v3
	v_cndmask_b32_e64 v11, 0, 16, vcc
	v_add_lshl_u32 v3, v11, v7, 2
	ds_bpermute_b32 v3, v3, v2
	s_waitcnt lgkmcnt(0)
	v_add_f32_e32 v2, v2, v3
	ds_bpermute_b32 v3, v9, v2
	s_waitcnt lgkmcnt(0)
	v_add_f32_e32 v2, v2, v3
	s_and_saveexec_b64 s[12:13], s[6:7]
; %bb.26:                               ;   in Loop: Header=BB15_20 Depth=1
	ds_write_b32 v1, v2 offset:8192
; %bb.27:                               ;   in Loop: Header=BB15_20 Depth=1
	s_or_b64 exec, exec, s[12:13]
	s_waitcnt lgkmcnt(0)
	; wave barrier
	s_mov_b64 s[12:13], s[6:7]
.LBB15_28:                              ;   in Loop: Header=BB15_20 Depth=1
	v_mov_b32_e32 v10, v2
	s_and_saveexec_b64 s[14:15], s[12:13]
	s_cbranch_execnz .LBB15_31
	s_branch .LBB15_32
.LBB15_29:                              ;   in Loop: Header=BB15_20 Depth=1
	s_mov_b64 s[12:13], 0
                                        ; implicit-def: $vgpr2
	s_cbranch_execz .LBB15_28
; %bb.30:                               ;   in Loop: Header=BB15_20 Depth=1
	s_andn2_b64 s[12:13], s[12:13], exec
	s_and_b64 s[14:15], s[6:7], exec
	s_or_b64 s[12:13], s[12:13], s[14:15]
	s_and_saveexec_b64 s[14:15], s[12:13]
.LBB15_31:                              ;   in Loop: Header=BB15_20 Depth=1
	ds_write_b32 v6, v10 offset:8192
.LBB15_32:                              ;   in Loop: Header=BB15_20 Depth=1
	s_or_b64 exec, exec, s[14:15]
	s_waitcnt lgkmcnt(0)
	; wave barrier
	s_and_saveexec_b64 s[12:13], s[4:5]
	s_cbranch_execz .LBB15_19
; %bb.33:                               ;   in Loop: Header=BB15_20 Depth=1
	global_load_dword v3, v6, s[0:1]
	ds_read_b32 v11, v6 offset:8192
	s_mov_b64 s[14:15], 0
	v_mov_b32_e32 v10, v4
	v_mov_b32_e32 v2, v5
	;; [unrolled: 1-line block ×3, first 2 shown]
	s_waitcnt vmcnt(0) lgkmcnt(0)
	v_mul_f32_e64 v11, v11, -v3
.LBB15_34:                              ;   Parent Loop BB15_20 Depth=1
                                        ; =>  This Inner Loop Header: Depth=2
	v_ashrrev_i32_e32 v3, 31, v2
	v_lshl_add_u64 v[14:15], v[2:3], 2, s[8:9]
	flat_load_dword v3, v[14:15]
	ds_read_b32 v13, v10
	v_add_u32_e32 v12, 64, v12
	v_cmp_le_i32_e32 vcc, s21, v12
	v_add_u32_e32 v10, 0x100, v10
	v_add_u32_e32 v2, s18, v2
	s_or_b64 s[14:15], vcc, s[14:15]
	s_waitcnt vmcnt(0) lgkmcnt(0)
	v_fmac_f32_e32 v3, v11, v13
	flat_store_dword v[14:15], v3
	s_andn2_b64 exec, exec, s[14:15]
	s_cbranch_execnz .LBB15_34
	s_branch .LBB15_19
.LBB15_35:
	s_endpgm
	.section	.rodata,"a",@progbits
	.p2align	6, 0x0
	.amdhsa_kernel _ZN9rocsolver6v33100L23larf_right_kernel_smallILi64EfiPKPfEEvT1_S5_T2_lS5_lPKT0_lS6_lS5_l
		.amdhsa_group_segment_fixed_size 8196
		.amdhsa_private_segment_fixed_size 0
		.amdhsa_kernarg_size 88
		.amdhsa_user_sgpr_count 2
		.amdhsa_user_sgpr_dispatch_ptr 0
		.amdhsa_user_sgpr_queue_ptr 0
		.amdhsa_user_sgpr_kernarg_segment_ptr 1
		.amdhsa_user_sgpr_dispatch_id 0
		.amdhsa_user_sgpr_kernarg_preload_length 0
		.amdhsa_user_sgpr_kernarg_preload_offset 0
		.amdhsa_user_sgpr_private_segment_size 0
		.amdhsa_uses_dynamic_stack 0
		.amdhsa_enable_private_segment 0
		.amdhsa_system_sgpr_workgroup_id_x 1
		.amdhsa_system_sgpr_workgroup_id_y 1
		.amdhsa_system_sgpr_workgroup_id_z 0
		.amdhsa_system_sgpr_workgroup_info 0
		.amdhsa_system_vgpr_workitem_id 0
		.amdhsa_next_free_vgpr 81
		.amdhsa_next_free_sgpr 96
		.amdhsa_accum_offset 16
		.amdhsa_reserve_vcc 1
		.amdhsa_float_round_mode_32 0
		.amdhsa_float_round_mode_16_64 0
		.amdhsa_float_denorm_mode_32 3
		.amdhsa_float_denorm_mode_16_64 3
		.amdhsa_dx10_clamp 1
		.amdhsa_ieee_mode 1
		.amdhsa_fp16_overflow 0
		.amdhsa_tg_split 0
		.amdhsa_exception_fp_ieee_invalid_op 0
		.amdhsa_exception_fp_denorm_src 0
		.amdhsa_exception_fp_ieee_div_zero 0
		.amdhsa_exception_fp_ieee_overflow 0
		.amdhsa_exception_fp_ieee_underflow 0
		.amdhsa_exception_fp_ieee_inexact 0
		.amdhsa_exception_int_div_zero 0
	.end_amdhsa_kernel
	.section	.text._ZN9rocsolver6v33100L23larf_right_kernel_smallILi64EfiPKPfEEvT1_S5_T2_lS5_lPKT0_lS6_lS5_l,"axG",@progbits,_ZN9rocsolver6v33100L23larf_right_kernel_smallILi64EfiPKPfEEvT1_S5_T2_lS5_lPKT0_lS6_lS5_l,comdat
.Lfunc_end15:
	.size	_ZN9rocsolver6v33100L23larf_right_kernel_smallILi64EfiPKPfEEvT1_S5_T2_lS5_lPKT0_lS6_lS5_l, .Lfunc_end15-_ZN9rocsolver6v33100L23larf_right_kernel_smallILi64EfiPKPfEEvT1_S5_T2_lS5_lPKT0_lS6_lS5_l
                                        ; -- End function
	.set _ZN9rocsolver6v33100L23larf_right_kernel_smallILi64EfiPKPfEEvT1_S5_T2_lS5_lPKT0_lS6_lS5_l.num_vgpr, 16
	.set _ZN9rocsolver6v33100L23larf_right_kernel_smallILi64EfiPKPfEEvT1_S5_T2_lS5_lPKT0_lS6_lS5_l.num_agpr, 0
	.set _ZN9rocsolver6v33100L23larf_right_kernel_smallILi64EfiPKPfEEvT1_S5_T2_lS5_lPKT0_lS6_lS5_l.numbered_sgpr, 34
	.set _ZN9rocsolver6v33100L23larf_right_kernel_smallILi64EfiPKPfEEvT1_S5_T2_lS5_lPKT0_lS6_lS5_l.num_named_barrier, 0
	.set _ZN9rocsolver6v33100L23larf_right_kernel_smallILi64EfiPKPfEEvT1_S5_T2_lS5_lPKT0_lS6_lS5_l.private_seg_size, 0
	.set _ZN9rocsolver6v33100L23larf_right_kernel_smallILi64EfiPKPfEEvT1_S5_T2_lS5_lPKT0_lS6_lS5_l.uses_vcc, 1
	.set _ZN9rocsolver6v33100L23larf_right_kernel_smallILi64EfiPKPfEEvT1_S5_T2_lS5_lPKT0_lS6_lS5_l.uses_flat_scratch, 0
	.set _ZN9rocsolver6v33100L23larf_right_kernel_smallILi64EfiPKPfEEvT1_S5_T2_lS5_lPKT0_lS6_lS5_l.has_dyn_sized_stack, 0
	.set _ZN9rocsolver6v33100L23larf_right_kernel_smallILi64EfiPKPfEEvT1_S5_T2_lS5_lPKT0_lS6_lS5_l.has_recursion, 0
	.set _ZN9rocsolver6v33100L23larf_right_kernel_smallILi64EfiPKPfEEvT1_S5_T2_lS5_lPKT0_lS6_lS5_l.has_indirect_call, 0
	.section	.AMDGPU.csdata,"",@progbits
; Kernel info:
; codeLenInByte = 1832
; TotalNumSgprs: 40
; NumVgprs: 16
; NumAgprs: 0
; TotalNumVgprs: 16
; ScratchSize: 0
; MemoryBound: 0
; FloatMode: 240
; IeeeMode: 1
; LDSByteSize: 8196 bytes/workgroup (compile time only)
; SGPRBlocks: 12
; VGPRBlocks: 10
; NumSGPRsForWavesPerEU: 102
; NumVGPRsForWavesPerEU: 81
; AccumOffset: 16
; Occupancy: 5
; WaveLimiterHint : 1
; COMPUTE_PGM_RSRC2:SCRATCH_EN: 0
; COMPUTE_PGM_RSRC2:USER_SGPR: 2
; COMPUTE_PGM_RSRC2:TRAP_HANDLER: 0
; COMPUTE_PGM_RSRC2:TGID_X_EN: 1
; COMPUTE_PGM_RSRC2:TGID_Y_EN: 1
; COMPUTE_PGM_RSRC2:TGID_Z_EN: 0
; COMPUTE_PGM_RSRC2:TIDIG_COMP_CNT: 0
; COMPUTE_PGM_RSRC3_GFX90A:ACCUM_OFFSET: 3
; COMPUTE_PGM_RSRC3_GFX90A:TG_SPLIT: 0
	.section	.text._ZN9rocsolver6v33100L23larf_right_kernel_smallILi128EfiPKPfEEvT1_S5_T2_lS5_lPKT0_lS6_lS5_l,"axG",@progbits,_ZN9rocsolver6v33100L23larf_right_kernel_smallILi128EfiPKPfEEvT1_S5_T2_lS5_lPKT0_lS6_lS5_l,comdat
	.globl	_ZN9rocsolver6v33100L23larf_right_kernel_smallILi128EfiPKPfEEvT1_S5_T2_lS5_lPKT0_lS6_lS5_l ; -- Begin function _ZN9rocsolver6v33100L23larf_right_kernel_smallILi128EfiPKPfEEvT1_S5_T2_lS5_lPKT0_lS6_lS5_l
	.p2align	8
	.type	_ZN9rocsolver6v33100L23larf_right_kernel_smallILi128EfiPKPfEEvT1_S5_T2_lS5_lPKT0_lS6_lS5_l,@function
_ZN9rocsolver6v33100L23larf_right_kernel_smallILi128EfiPKPfEEvT1_S5_T2_lS5_lPKT0_lS6_lS5_l: ; @_ZN9rocsolver6v33100L23larf_right_kernel_smallILi128EfiPKPfEEvT1_S5_T2_lS5_lPKT0_lS6_lS5_l
; %bb.0:
	s_load_dwordx8 s[12:19], s[0:1], 0x28
	s_load_dwordx2 s[20:21], s[0:1], 0x0
	s_mov_b32 s10, s3
	s_ashr_i32 s3, s2, 31
	s_lshl_b64 s[6:7], s[2:3], 3
	s_waitcnt lgkmcnt(0)
	s_add_u32 s4, s16, s6
	s_addc_u32 s5, s17, s7
	s_load_dwordx2 s[16:17], s[4:5], 0x0
	v_cmp_gt_i32_e64 s[4:5], s21, v0
	s_and_saveexec_b64 s[22:23], s[4:5]
	s_cbranch_execz .LBB16_17
; %bb.1:
	s_load_dwordx4 s[24:27], s[0:1], 0x8
	s_load_dword s11, s[0:1], 0x18
	v_xad_u32 v2, v0, -1, s21
	s_movk_i32 s8, 0xb7f
	v_cmp_lt_u32_e32 vcc, s8, v2
	s_waitcnt lgkmcnt(0)
	s_add_u32 s6, s24, s6
	s_addc_u32 s7, s25, s7
	s_load_dwordx2 s[6:7], s[6:7], 0x0
	s_lshl_b64 s[8:9], s[26:27], 2
                                        ; implicit-def: $vgpr1
                                        ; implicit-def: $vgpr4
	s_waitcnt lgkmcnt(0)
	s_add_u32 s24, s6, s8
	s_addc_u32 s25, s7, s9
	s_sub_i32 s6, 1, s21
	s_mul_i32 s6, s11, s6
	s_cmp_lt_i32 s11, 1
	s_cselect_b32 s30, s6, 0
	s_mov_b64 s[6:7], 0
	s_and_saveexec_b64 s[8:9], vcc
	s_xor_b64 s[26:27], exec, s[8:9]
	s_cbranch_execnz .LBB16_4
; %bb.2:
	s_andn2_saveexec_b64 s[8:9], s[26:27]
	s_cbranch_execnz .LBB16_14
.LBB16_3:
	s_or_b64 exec, exec, s[8:9]
	s_and_b64 exec, exec, s[6:7]
	s_cbranch_execnz .LBB16_15
	s_branch .LBB16_17
.LBB16_4:
	s_lshl_b32 s31, s11, 7
	s_sub_i32 s8, 0, s31
	s_cmp_lt_i32 s31, 0
	s_cselect_b64 vcc, -1, 0
	s_and_b64 s[6:7], vcc, exec
	v_lshrrev_b32_e32 v4, 7, v2
	s_cselect_b32 s8, s8, s31
	v_mul_lo_u32 v1, v0, s11
	v_mul_hi_u32 v2, s8, v4
	v_add_u32_e32 v1, s30, v1
	v_cmp_eq_u32_e64 s[6:7], 0, v2
	v_mul_lo_u32 v2, s8, v4
	v_add_u32_e32 v3, v1, v2
	v_sub_u32_e32 v2, v1, v2
	v_cmp_gt_i32_e64 s[8:9], v2, v1
	s_nop 1
	v_cndmask_b32_e64 v2, 0, 1, s[8:9]
	v_cmp_lt_i32_e64 s[8:9], v3, v1
	s_nop 1
	v_cndmask_b32_e64 v1, 0, 1, s[8:9]
	v_cndmask_b32_e32 v1, v1, v2, vcc
	v_and_b32_e32 v1, 1, v1
	v_cmp_eq_u32_e32 vcc, 1, v1
	s_xor_b64 s[28:29], vcc, -1
	s_mov_b64 s[8:9], -1
	s_and_b64 s[28:29], s[28:29], s[6:7]
	v_mov_b32_e32 v1, v0
	s_and_saveexec_b64 s[6:7], s[28:29]
	s_cbranch_execz .LBB16_13
; %bb.5:
	v_add_u32_e32 v2, -1, v4
	v_or_b32_e32 v1, 0x80, v0
	v_lshrrev_b32_e32 v3, 1, v2
	s_mov_b32 s33, 0
	v_add_u32_e32 v5, 1, v3
	v_cmp_lt_u32_e32 vcc, 5, v2
	v_mov_b32_e32 v8, 0
	v_mov_b64_e32 v[2:3], v[0:1]
	s_and_saveexec_b64 s[8:9], vcc
	s_cbranch_execz .LBB16_9
; %bb.6:
	v_and_b32_e32 v6, -4, v5
	v_lshlrev_b32_e32 v7, 2, v0
	s_mov_b64 s[28:29], 0
	v_mov_b64_e32 v[2:3], v[0:1]
.LBB16_7:                               ; =>This Inner Loop Header: Depth=1
	v_mul_lo_u32 v8, v2, s11
	v_mul_lo_u32 v1, v3, s11
	v_add_u32_e32 v8, s30, v8
	v_add_u32_e32 v10, s30, v1
	v_ashrrev_i32_e32 v9, 31, v8
	v_ashrrev_i32_e32 v11, 31, v10
	v_lshl_add_u64 v[8:9], v[8:9], 2, s[24:25]
	v_lshl_add_u64 v[10:11], v[10:11], 2, s[24:25]
	flat_load_dword v1, v[8:9]
	flat_load_dword v12, v[10:11]
	v_add_u32_e32 v8, 0x100, v2
	v_add_u32_e32 v9, 0x100, v3
	v_mul_lo_u32 v8, v8, s11
	v_mul_lo_u32 v9, v9, s11
	v_add_u32_e32 v8, s30, v8
	v_add_u32_e32 v10, s30, v9
	v_ashrrev_i32_e32 v9, 31, v8
	v_ashrrev_i32_e32 v11, 31, v10
	v_lshl_add_u64 v[8:9], v[8:9], 2, s[24:25]
	v_lshl_add_u64 v[10:11], v[10:11], 2, s[24:25]
	v_add_u32_e32 v6, -4, v6
	s_add_i32 s33, s33, 8
	v_cmp_eq_u32_e32 vcc, 0, v6
	s_or_b64 s[28:29], vcc, s[28:29]
	s_waitcnt vmcnt(0) lgkmcnt(0)
	ds_write2st64_b32 v7, v1, v12 offset1:2
	flat_load_dword v1, v[8:9]
	flat_load_dword v12, v[10:11]
	v_add_u32_e32 v8, 0x200, v2
	v_add_u32_e32 v9, 0x200, v3
	v_mul_lo_u32 v8, v8, s11
	v_mul_lo_u32 v9, v9, s11
	v_add_u32_e32 v8, s30, v8
	v_add_u32_e32 v10, s30, v9
	v_ashrrev_i32_e32 v9, 31, v8
	v_ashrrev_i32_e32 v11, 31, v10
	v_lshl_add_u64 v[8:9], v[8:9], 2, s[24:25]
	v_lshl_add_u64 v[10:11], v[10:11], 2, s[24:25]
	s_waitcnt vmcnt(0) lgkmcnt(0)
	ds_write2st64_b32 v7, v1, v12 offset0:4 offset1:6
	flat_load_dword v1, v[8:9]
	flat_load_dword v12, v[10:11]
	v_add_u32_e32 v8, 0x300, v2
	v_add_u32_e32 v9, 0x300, v3
	v_mul_lo_u32 v8, v8, s11
	v_mul_lo_u32 v9, v9, s11
	v_add_u32_e32 v8, s30, v8
	v_add_u32_e32 v10, s30, v9
	v_ashrrev_i32_e32 v9, 31, v8
	v_ashrrev_i32_e32 v11, 31, v10
	v_lshl_add_u64 v[8:9], v[8:9], 2, s[24:25]
	v_lshl_add_u64 v[10:11], v[10:11], 2, s[24:25]
	v_add_u32_e32 v3, 0x400, v3
	v_add_u32_e32 v2, 0x400, v2
	s_waitcnt vmcnt(0) lgkmcnt(0)
	ds_write2st64_b32 v7, v1, v12 offset0:8 offset1:10
	flat_load_dword v1, v[8:9]
	flat_load_dword v12, v[10:11]
	v_mov_b32_e32 v8, s33
	s_waitcnt vmcnt(0) lgkmcnt(0)
	ds_write2st64_b32 v7, v1, v12 offset0:12 offset1:14
	v_add_u32_e32 v7, 0x1000, v7
	s_andn2_b64 exec, exec, s[28:29]
	s_cbranch_execnz .LBB16_7
; %bb.8:
	s_or_b64 exec, exec, s[28:29]
.LBB16_9:
	s_or_b64 exec, exec, s[8:9]
	v_and_b32_e32 v1, 3, v5
	v_cmp_ne_u32_e32 vcc, 0, v1
	s_and_saveexec_b64 s[8:9], vcc
	s_cbranch_execz .LBB16_12
; %bb.10:
	v_lshlrev_b32_e32 v5, 2, v0
	v_lshl_or_b32 v5, v8, 9, v5
	s_mov_b64 s[28:29], 0
.LBB16_11:                              ; =>This Inner Loop Header: Depth=1
	v_mul_lo_u32 v6, v2, s11
	v_mul_lo_u32 v7, v3, s11
	v_add_u32_e32 v6, s30, v6
	v_add_u32_e32 v8, s30, v7
	v_ashrrev_i32_e32 v7, 31, v6
	v_ashrrev_i32_e32 v9, 31, v8
	v_lshl_add_u64 v[6:7], v[6:7], 2, s[24:25]
	v_lshl_add_u64 v[8:9], v[8:9], 2, s[24:25]
	flat_load_dword v10, v[6:7]
	flat_load_dword v11, v[8:9]
	v_add_u32_e32 v1, -1, v1
	v_cmp_eq_u32_e32 vcc, 0, v1
	v_add_u32_e32 v3, 0x100, v3
	v_add_u32_e32 v2, 0x100, v2
	s_or_b64 s[28:29], vcc, s[28:29]
	s_waitcnt vmcnt(0) lgkmcnt(0)
	ds_write2st64_b32 v5, v10, v11 offset1:2
	v_add_u32_e32 v5, 0x400, v5
	s_andn2_b64 exec, exec, s[28:29]
	s_cbranch_execnz .LBB16_11
.LBB16_12:
	s_or_b64 exec, exec, s[8:9]
	v_add_u32_e32 v2, 1, v4
	v_and_b32_e32 v3, 0x3fffffe, v2
	v_cmp_ne_u32_e32 vcc, v2, v3
	v_lshl_or_b32 v1, v3, 7, v0
	s_orn2_b64 s[8:9], vcc, exec
.LBB16_13:
	s_or_b64 exec, exec, s[6:7]
	v_mov_b32_e32 v4, s31
	s_and_b64 s[6:7], s[8:9], exec
	s_andn2_saveexec_b64 s[8:9], s[26:27]
	s_cbranch_execz .LBB16_3
.LBB16_14:
	s_lshl_b32 s26, s11, 7
	v_mov_b32_e32 v4, s26
	s_or_b64 s[6:7], s[6:7], exec
	v_mov_b32_e32 v1, v0
	s_or_b64 exec, exec, s[8:9]
	s_and_b64 exec, exec, s[6:7]
	s_cbranch_execz .LBB16_17
.LBB16_15:
	v_mul_lo_u32 v2, v1, s11
	v_add_u32_e32 v2, s30, v2
	v_lshlrev_b32_e32 v5, 2, v1
	s_mov_b64 s[6:7], 0
.LBB16_16:                              ; =>This Inner Loop Header: Depth=1
	v_ashrrev_i32_e32 v3, 31, v2
	v_lshl_add_u64 v[6:7], v[2:3], 2, s[24:25]
	flat_load_dword v3, v[6:7]
	v_add_u32_e32 v1, 0x80, v1
	v_cmp_le_i32_e32 vcc, s21, v1
	v_add_u32_e32 v2, v2, v4
	s_or_b64 s[6:7], vcc, s[6:7]
	s_waitcnt vmcnt(0) lgkmcnt(0)
	ds_write_b32 v5, v3
	v_add_u32_e32 v5, 0x200, v5
	s_andn2_b64 exec, exec, s[6:7]
	s_cbranch_execnz .LBB16_16
.LBB16_17:
	s_or_b64 exec, exec, s[22:23]
	s_cmp_ge_i32 s10, s20
	s_waitcnt lgkmcnt(0)
	s_barrier
	s_cbranch_scc1 .LBB16_37
; %bb.18:
	s_load_dword s11, s[0:1], 0x48
	s_lshl_b64 s[0:1], s[18:19], 2
	s_add_u32 s22, s16, s0
	s_addc_u32 s23, s17, s1
	s_mul_i32 s0, s14, s3
	s_mul_hi_u32 s1, s14, s2
	s_add_i32 s0, s1, s0
	s_mul_i32 s1, s15, s2
	s_add_i32 s1, s0, s1
	s_mul_i32 s0, s14, s2
	s_lshl_b64 s[0:1], s[0:1], 2
	s_add_u32 s6, s12, s0
	s_addc_u32 s7, s13, s1
	v_mbcnt_lo_u32_b32 v2, -1, 0
	s_cmp_gt_i32 s21, 1
	v_and_b32_e32 v1, 63, v0
	v_mbcnt_hi_u32_b32 v7, -1, v2
	v_mov_b32_e32 v2, 0x80
	s_cselect_b64 s[8:9], -1, 0
	v_cmp_eq_u32_e64 s[0:1], 0, v1
	v_lshrrev_b32_e32 v1, 4, v0
	v_cmp_eq_u32_e64 s[2:3], 0, v0
	v_lshlrev_b32_e32 v4, 2, v0
	s_waitcnt lgkmcnt(0)
	v_mul_lo_u32 v5, v0, s11
	s_lshl_b32 s24, s11, 7
	v_mov_b32_e32 v6, 0
	v_and_b32_e32 v8, 63, v7
	v_lshl_or_b32 v9, v7, 2, v2
	s_branch .LBB16_20
.LBB16_19:                              ;   in Loop: Header=BB16_20 Depth=1
	s_or_b64 exec, exec, s[14:15]
	s_add_i32 s10, s10, 64
	s_cmp_ge_i32 s10, s20
	s_cbranch_scc1 .LBB16_37
.LBB16_20:                              ; =>This Loop Header: Depth=1
                                        ;     Child Loop BB16_22 Depth 2
                                        ;     Child Loop BB16_36 Depth 2
	s_ashr_i32 s11, s10, 31
	s_lshl_b64 s[12:13], s[10:11], 2
	s_add_u32 s12, s22, s12
	s_addc_u32 s13, s23, s13
	v_mov_b32_e32 v10, 0
	s_and_saveexec_b64 s[14:15], s[4:5]
	s_cbranch_execz .LBB16_24
; %bb.21:                               ;   in Loop: Header=BB16_20 Depth=1
	v_mov_b32_e32 v10, 0
	s_mov_b64 s[16:17], 0
	v_mov_b32_e32 v2, v5
	v_mov_b32_e32 v11, v4
	;; [unrolled: 1-line block ×3, first 2 shown]
.LBB16_22:                              ;   Parent Loop BB16_20 Depth=1
                                        ; =>  This Inner Loop Header: Depth=2
	v_ashrrev_i32_e32 v3, 31, v2
	v_lshl_add_u64 v[14:15], v[2:3], 2, s[12:13]
	flat_load_dword v3, v[14:15]
	ds_read_b32 v13, v11
	v_add_u32_e32 v12, 0x80, v12
	v_cmp_le_i32_e32 vcc, s21, v12
	v_add_u32_e32 v11, 0x200, v11
	v_add_u32_e32 v2, s24, v2
	s_or_b64 s[16:17], vcc, s[16:17]
	s_waitcnt vmcnt(0) lgkmcnt(0)
	v_fmac_f32_e32 v10, v13, v3
	s_andn2_b64 exec, exec, s[16:17]
	s_cbranch_execnz .LBB16_22
; %bb.23:                               ;   in Loop: Header=BB16_20 Depth=1
	s_or_b64 exec, exec, s[16:17]
.LBB16_24:                              ;   in Loop: Header=BB16_20 Depth=1
	s_or_b64 exec, exec, s[14:15]
	s_and_b64 vcc, exec, s[8:9]
	s_cbranch_vccz .LBB16_31
; %bb.25:                               ;   in Loop: Header=BB16_20 Depth=1
	v_cmp_ne_u32_e32 vcc, 63, v8
	s_nop 1
	v_addc_co_u32_e32 v2, vcc, 0, v7, vcc
	v_lshlrev_b32_e32 v2, 2, v2
	ds_bpermute_b32 v2, v2, v10
	v_cmp_gt_u32_e32 vcc, 62, v8
	s_waitcnt lgkmcnt(0)
	v_add_f32_e32 v2, v10, v2
	v_cndmask_b32_e64 v3, 0, 2, vcc
	v_add_lshl_u32 v3, v3, v7, 2
	ds_bpermute_b32 v3, v3, v2
	v_cmp_gt_u32_e32 vcc, 60, v8
	s_waitcnt lgkmcnt(0)
	v_add_f32_e32 v2, v2, v3
	v_cndmask_b32_e64 v11, 0, 4, vcc
	v_add_lshl_u32 v11, v11, v7, 2
	;; [unrolled: 6-line block ×4, first 2 shown]
	ds_bpermute_b32 v3, v3, v2
	s_waitcnt lgkmcnt(0)
	v_add_f32_e32 v2, v2, v3
	ds_bpermute_b32 v3, v9, v2
	s_waitcnt lgkmcnt(0)
	v_add_f32_e32 v3, v2, v3
	s_and_saveexec_b64 s[14:15], s[0:1]
; %bb.26:                               ;   in Loop: Header=BB16_20 Depth=1
	ds_write_b32 v1, v3 offset:8192
; %bb.27:                               ;   in Loop: Header=BB16_20 Depth=1
	s_or_b64 exec, exec, s[14:15]
	s_mov_b64 s[16:17], 0
	s_mov_b64 s[14:15], 0
	s_waitcnt lgkmcnt(0)
	s_barrier
                                        ; implicit-def: $vgpr2
	s_and_saveexec_b64 s[18:19], s[2:3]
	s_xor_b64 s[18:19], exec, s[18:19]
	s_cbranch_execz .LBB16_29
; %bb.28:                               ;   in Loop: Header=BB16_20 Depth=1
	ds_read_b32 v2, v6 offset:8196
	s_mov_b64 s[14:15], exec
	s_waitcnt lgkmcnt(0)
	v_add_f32_e32 v2, v3, v2
.LBB16_29:                              ;   in Loop: Header=BB16_20 Depth=1
	s_or_b64 exec, exec, s[18:19]
	s_and_b64 vcc, exec, s[16:17]
	s_cbranch_vccnz .LBB16_32
.LBB16_30:                              ;   in Loop: Header=BB16_20 Depth=1
	v_mov_b32_e32 v10, v2
	s_and_saveexec_b64 s[16:17], s[14:15]
	s_cbranch_execnz .LBB16_33
	s_branch .LBB16_34
.LBB16_31:                              ;   in Loop: Header=BB16_20 Depth=1
	s_mov_b64 s[14:15], 0
                                        ; implicit-def: $vgpr2
	s_cbranch_execz .LBB16_30
.LBB16_32:                              ;   in Loop: Header=BB16_20 Depth=1
	s_andn2_b64 s[14:15], s[14:15], exec
	s_and_b64 s[16:17], s[2:3], exec
	s_or_b64 s[14:15], s[14:15], s[16:17]
	s_and_saveexec_b64 s[16:17], s[14:15]
.LBB16_33:                              ;   in Loop: Header=BB16_20 Depth=1
	ds_write_b32 v6, v10 offset:8192
.LBB16_34:                              ;   in Loop: Header=BB16_20 Depth=1
	s_or_b64 exec, exec, s[16:17]
	s_waitcnt lgkmcnt(0)
	s_barrier
	s_and_saveexec_b64 s[14:15], s[4:5]
	s_cbranch_execz .LBB16_19
; %bb.35:                               ;   in Loop: Header=BB16_20 Depth=1
	global_load_dword v3, v6, s[6:7]
	ds_read_b32 v11, v6 offset:8192
	s_mov_b64 s[16:17], 0
	v_mov_b32_e32 v10, v4
	v_mov_b32_e32 v2, v5
	v_mov_b32_e32 v12, v0
	s_waitcnt vmcnt(0) lgkmcnt(0)
	v_mul_f32_e64 v11, v11, -v3
.LBB16_36:                              ;   Parent Loop BB16_20 Depth=1
                                        ; =>  This Inner Loop Header: Depth=2
	v_ashrrev_i32_e32 v3, 31, v2
	v_lshl_add_u64 v[14:15], v[2:3], 2, s[12:13]
	flat_load_dword v3, v[14:15]
	ds_read_b32 v13, v10
	v_add_u32_e32 v12, 0x80, v12
	v_cmp_le_i32_e32 vcc, s21, v12
	v_add_u32_e32 v10, 0x200, v10
	v_add_u32_e32 v2, s24, v2
	s_or_b64 s[16:17], vcc, s[16:17]
	s_waitcnt vmcnt(0) lgkmcnt(0)
	v_fmac_f32_e32 v3, v11, v13
	flat_store_dword v[14:15], v3
	s_andn2_b64 exec, exec, s[16:17]
	s_cbranch_execnz .LBB16_36
	s_branch .LBB16_19
.LBB16_37:
	s_endpgm
	.section	.rodata,"a",@progbits
	.p2align	6, 0x0
	.amdhsa_kernel _ZN9rocsolver6v33100L23larf_right_kernel_smallILi128EfiPKPfEEvT1_S5_T2_lS5_lPKT0_lS6_lS5_l
		.amdhsa_group_segment_fixed_size 8200
		.amdhsa_private_segment_fixed_size 0
		.amdhsa_kernarg_size 88
		.amdhsa_user_sgpr_count 2
		.amdhsa_user_sgpr_dispatch_ptr 0
		.amdhsa_user_sgpr_queue_ptr 0
		.amdhsa_user_sgpr_kernarg_segment_ptr 1
		.amdhsa_user_sgpr_dispatch_id 0
		.amdhsa_user_sgpr_kernarg_preload_length 0
		.amdhsa_user_sgpr_kernarg_preload_offset 0
		.amdhsa_user_sgpr_private_segment_size 0
		.amdhsa_uses_dynamic_stack 0
		.amdhsa_enable_private_segment 0
		.amdhsa_system_sgpr_workgroup_id_x 1
		.amdhsa_system_sgpr_workgroup_id_y 1
		.amdhsa_system_sgpr_workgroup_id_z 0
		.amdhsa_system_sgpr_workgroup_info 0
		.amdhsa_system_vgpr_workitem_id 0
		.amdhsa_next_free_vgpr 16
		.amdhsa_next_free_sgpr 34
		.amdhsa_accum_offset 16
		.amdhsa_reserve_vcc 1
		.amdhsa_float_round_mode_32 0
		.amdhsa_float_round_mode_16_64 0
		.amdhsa_float_denorm_mode_32 3
		.amdhsa_float_denorm_mode_16_64 3
		.amdhsa_dx10_clamp 1
		.amdhsa_ieee_mode 1
		.amdhsa_fp16_overflow 0
		.amdhsa_tg_split 0
		.amdhsa_exception_fp_ieee_invalid_op 0
		.amdhsa_exception_fp_denorm_src 0
		.amdhsa_exception_fp_ieee_div_zero 0
		.amdhsa_exception_fp_ieee_overflow 0
		.amdhsa_exception_fp_ieee_underflow 0
		.amdhsa_exception_fp_ieee_inexact 0
		.amdhsa_exception_int_div_zero 0
	.end_amdhsa_kernel
	.section	.text._ZN9rocsolver6v33100L23larf_right_kernel_smallILi128EfiPKPfEEvT1_S5_T2_lS5_lPKT0_lS6_lS5_l,"axG",@progbits,_ZN9rocsolver6v33100L23larf_right_kernel_smallILi128EfiPKPfEEvT1_S5_T2_lS5_lPKT0_lS6_lS5_l,comdat
.Lfunc_end16:
	.size	_ZN9rocsolver6v33100L23larf_right_kernel_smallILi128EfiPKPfEEvT1_S5_T2_lS5_lPKT0_lS6_lS5_l, .Lfunc_end16-_ZN9rocsolver6v33100L23larf_right_kernel_smallILi128EfiPKPfEEvT1_S5_T2_lS5_lPKT0_lS6_lS5_l
                                        ; -- End function
	.set _ZN9rocsolver6v33100L23larf_right_kernel_smallILi128EfiPKPfEEvT1_S5_T2_lS5_lPKT0_lS6_lS5_l.num_vgpr, 16
	.set _ZN9rocsolver6v33100L23larf_right_kernel_smallILi128EfiPKPfEEvT1_S5_T2_lS5_lPKT0_lS6_lS5_l.num_agpr, 0
	.set _ZN9rocsolver6v33100L23larf_right_kernel_smallILi128EfiPKPfEEvT1_S5_T2_lS5_lPKT0_lS6_lS5_l.numbered_sgpr, 34
	.set _ZN9rocsolver6v33100L23larf_right_kernel_smallILi128EfiPKPfEEvT1_S5_T2_lS5_lPKT0_lS6_lS5_l.num_named_barrier, 0
	.set _ZN9rocsolver6v33100L23larf_right_kernel_smallILi128EfiPKPfEEvT1_S5_T2_lS5_lPKT0_lS6_lS5_l.private_seg_size, 0
	.set _ZN9rocsolver6v33100L23larf_right_kernel_smallILi128EfiPKPfEEvT1_S5_T2_lS5_lPKT0_lS6_lS5_l.uses_vcc, 1
	.set _ZN9rocsolver6v33100L23larf_right_kernel_smallILi128EfiPKPfEEvT1_S5_T2_lS5_lPKT0_lS6_lS5_l.uses_flat_scratch, 0
	.set _ZN9rocsolver6v33100L23larf_right_kernel_smallILi128EfiPKPfEEvT1_S5_T2_lS5_lPKT0_lS6_lS5_l.has_dyn_sized_stack, 0
	.set _ZN9rocsolver6v33100L23larf_right_kernel_smallILi128EfiPKPfEEvT1_S5_T2_lS5_lPKT0_lS6_lS5_l.has_recursion, 0
	.set _ZN9rocsolver6v33100L23larf_right_kernel_smallILi128EfiPKPfEEvT1_S5_T2_lS5_lPKT0_lS6_lS5_l.has_indirect_call, 0
	.section	.AMDGPU.csdata,"",@progbits
; Kernel info:
; codeLenInByte = 1920
; TotalNumSgprs: 40
; NumVgprs: 16
; NumAgprs: 0
; TotalNumVgprs: 16
; ScratchSize: 0
; MemoryBound: 0
; FloatMode: 240
; IeeeMode: 1
; LDSByteSize: 8200 bytes/workgroup (compile time only)
; SGPRBlocks: 4
; VGPRBlocks: 1
; NumSGPRsForWavesPerEU: 40
; NumVGPRsForWavesPerEU: 16
; AccumOffset: 16
; Occupancy: 8
; WaveLimiterHint : 1
; COMPUTE_PGM_RSRC2:SCRATCH_EN: 0
; COMPUTE_PGM_RSRC2:USER_SGPR: 2
; COMPUTE_PGM_RSRC2:TRAP_HANDLER: 0
; COMPUTE_PGM_RSRC2:TGID_X_EN: 1
; COMPUTE_PGM_RSRC2:TGID_Y_EN: 1
; COMPUTE_PGM_RSRC2:TGID_Z_EN: 0
; COMPUTE_PGM_RSRC2:TIDIG_COMP_CNT: 0
; COMPUTE_PGM_RSRC3_GFX90A:ACCUM_OFFSET: 3
; COMPUTE_PGM_RSRC3_GFX90A:TG_SPLIT: 0
	.section	.text._ZN9rocsolver6v33100L23larf_right_kernel_smallILi256EfiPKPfEEvT1_S5_T2_lS5_lPKT0_lS6_lS5_l,"axG",@progbits,_ZN9rocsolver6v33100L23larf_right_kernel_smallILi256EfiPKPfEEvT1_S5_T2_lS5_lPKT0_lS6_lS5_l,comdat
	.globl	_ZN9rocsolver6v33100L23larf_right_kernel_smallILi256EfiPKPfEEvT1_S5_T2_lS5_lPKT0_lS6_lS5_l ; -- Begin function _ZN9rocsolver6v33100L23larf_right_kernel_smallILi256EfiPKPfEEvT1_S5_T2_lS5_lPKT0_lS6_lS5_l
	.p2align	8
	.type	_ZN9rocsolver6v33100L23larf_right_kernel_smallILi256EfiPKPfEEvT1_S5_T2_lS5_lPKT0_lS6_lS5_l,@function
_ZN9rocsolver6v33100L23larf_right_kernel_smallILi256EfiPKPfEEvT1_S5_T2_lS5_lPKT0_lS6_lS5_l: ; @_ZN9rocsolver6v33100L23larf_right_kernel_smallILi256EfiPKPfEEvT1_S5_T2_lS5_lPKT0_lS6_lS5_l
; %bb.0:
	s_load_dwordx8 s[12:19], s[0:1], 0x28
	s_load_dwordx2 s[20:21], s[0:1], 0x0
	s_mov_b32 s10, s3
	s_ashr_i32 s3, s2, 31
	s_lshl_b64 s[6:7], s[2:3], 3
	s_waitcnt lgkmcnt(0)
	s_add_u32 s4, s16, s6
	s_addc_u32 s5, s17, s7
	s_load_dwordx2 s[16:17], s[4:5], 0x0
	v_cmp_gt_i32_e64 s[4:5], s21, v0
	s_and_saveexec_b64 s[22:23], s[4:5]
	s_cbranch_execz .LBB17_17
; %bb.1:
	s_load_dwordx4 s[24:27], s[0:1], 0x8
	s_load_dword s11, s[0:1], 0x18
	v_xad_u32 v2, v0, -1, s21
	s_movk_i32 s8, 0x16ff
	v_cmp_lt_u32_e32 vcc, s8, v2
	s_waitcnt lgkmcnt(0)
	s_add_u32 s6, s24, s6
	s_addc_u32 s7, s25, s7
	s_load_dwordx2 s[6:7], s[6:7], 0x0
	s_lshl_b64 s[8:9], s[26:27], 2
                                        ; implicit-def: $vgpr1
                                        ; implicit-def: $vgpr4
	s_waitcnt lgkmcnt(0)
	s_add_u32 s24, s6, s8
	s_addc_u32 s25, s7, s9
	s_sub_i32 s6, 1, s21
	s_mul_i32 s6, s11, s6
	s_cmp_lt_i32 s11, 1
	s_cselect_b32 s30, s6, 0
	s_mov_b64 s[6:7], 0
	s_and_saveexec_b64 s[8:9], vcc
	s_xor_b64 s[26:27], exec, s[8:9]
	s_cbranch_execnz .LBB17_4
; %bb.2:
	s_andn2_saveexec_b64 s[8:9], s[26:27]
	s_cbranch_execnz .LBB17_14
.LBB17_3:
	s_or_b64 exec, exec, s[8:9]
	s_and_b64 exec, exec, s[6:7]
	s_cbranch_execnz .LBB17_15
	s_branch .LBB17_17
.LBB17_4:
	s_lshl_b32 s31, s11, 8
	s_sub_i32 s8, 0, s31
	s_cmp_lt_i32 s31, 0
	s_cselect_b64 vcc, -1, 0
	s_and_b64 s[6:7], vcc, exec
	v_lshrrev_b32_e32 v4, 8, v2
	s_cselect_b32 s8, s8, s31
	v_mul_lo_u32 v1, v0, s11
	v_mul_hi_u32 v2, s8, v4
	v_add_u32_e32 v1, s30, v1
	v_cmp_eq_u32_e64 s[6:7], 0, v2
	v_mul_lo_u32 v2, s8, v4
	v_add_u32_e32 v3, v1, v2
	v_sub_u32_e32 v2, v1, v2
	v_cmp_gt_i32_e64 s[8:9], v2, v1
	s_nop 1
	v_cndmask_b32_e64 v2, 0, 1, s[8:9]
	v_cmp_lt_i32_e64 s[8:9], v3, v1
	s_nop 1
	v_cndmask_b32_e64 v1, 0, 1, s[8:9]
	v_cndmask_b32_e32 v1, v1, v2, vcc
	v_and_b32_e32 v1, 1, v1
	v_cmp_eq_u32_e32 vcc, 1, v1
	s_xor_b64 s[28:29], vcc, -1
	s_mov_b64 s[8:9], -1
	s_and_b64 s[28:29], s[28:29], s[6:7]
	v_mov_b32_e32 v1, v0
	s_and_saveexec_b64 s[6:7], s[28:29]
	s_cbranch_execz .LBB17_13
; %bb.5:
	v_add_u32_e32 v2, -1, v4
	v_or_b32_e32 v1, 0x100, v0
	v_lshrrev_b32_e32 v3, 1, v2
	s_mov_b32 s33, 0
	v_add_u32_e32 v5, 1, v3
	v_cmp_lt_u32_e32 vcc, 5, v2
	v_mov_b32_e32 v8, 0
	v_mov_b64_e32 v[2:3], v[0:1]
	s_and_saveexec_b64 s[8:9], vcc
	s_cbranch_execz .LBB17_9
; %bb.6:
	v_and_b32_e32 v6, -4, v5
	v_lshlrev_b32_e32 v7, 2, v0
	s_mov_b64 s[28:29], 0
	v_mov_b64_e32 v[2:3], v[0:1]
.LBB17_7:                               ; =>This Inner Loop Header: Depth=1
	v_mul_lo_u32 v8, v2, s11
	v_mul_lo_u32 v1, v3, s11
	v_add_u32_e32 v8, s30, v8
	v_add_u32_e32 v10, s30, v1
	v_ashrrev_i32_e32 v9, 31, v8
	v_ashrrev_i32_e32 v11, 31, v10
	v_lshl_add_u64 v[8:9], v[8:9], 2, s[24:25]
	v_lshl_add_u64 v[10:11], v[10:11], 2, s[24:25]
	flat_load_dword v1, v[8:9]
	flat_load_dword v12, v[10:11]
	v_add_u32_e32 v8, 0x200, v2
	v_add_u32_e32 v9, 0x200, v3
	v_mul_lo_u32 v8, v8, s11
	v_mul_lo_u32 v9, v9, s11
	v_add_u32_e32 v8, s30, v8
	v_add_u32_e32 v10, s30, v9
	v_ashrrev_i32_e32 v9, 31, v8
	v_ashrrev_i32_e32 v11, 31, v10
	v_lshl_add_u64 v[8:9], v[8:9], 2, s[24:25]
	v_lshl_add_u64 v[10:11], v[10:11], 2, s[24:25]
	v_add_u32_e32 v6, -4, v6
	s_add_i32 s33, s33, 8
	v_cmp_eq_u32_e32 vcc, 0, v6
	s_or_b64 s[28:29], vcc, s[28:29]
	s_waitcnt vmcnt(0) lgkmcnt(0)
	ds_write2st64_b32 v7, v1, v12 offset1:4
	flat_load_dword v1, v[8:9]
	flat_load_dword v12, v[10:11]
	v_add_u32_e32 v8, 0x400, v2
	v_add_u32_e32 v9, 0x400, v3
	v_mul_lo_u32 v8, v8, s11
	v_mul_lo_u32 v9, v9, s11
	v_add_u32_e32 v8, s30, v8
	v_add_u32_e32 v10, s30, v9
	v_ashrrev_i32_e32 v9, 31, v8
	v_ashrrev_i32_e32 v11, 31, v10
	v_lshl_add_u64 v[8:9], v[8:9], 2, s[24:25]
	v_lshl_add_u64 v[10:11], v[10:11], 2, s[24:25]
	s_waitcnt vmcnt(0) lgkmcnt(0)
	ds_write2st64_b32 v7, v1, v12 offset0:8 offset1:12
	flat_load_dword v1, v[8:9]
	flat_load_dword v12, v[10:11]
	v_add_u32_e32 v8, 0x600, v2
	v_add_u32_e32 v9, 0x600, v3
	v_mul_lo_u32 v8, v8, s11
	v_mul_lo_u32 v9, v9, s11
	v_add_u32_e32 v8, s30, v8
	v_add_u32_e32 v10, s30, v9
	v_ashrrev_i32_e32 v9, 31, v8
	v_ashrrev_i32_e32 v11, 31, v10
	v_lshl_add_u64 v[8:9], v[8:9], 2, s[24:25]
	v_lshl_add_u64 v[10:11], v[10:11], 2, s[24:25]
	v_add_u32_e32 v3, 0x800, v3
	v_add_u32_e32 v2, 0x800, v2
	s_waitcnt vmcnt(0) lgkmcnt(0)
	ds_write2st64_b32 v7, v1, v12 offset0:16 offset1:20
	flat_load_dword v1, v[8:9]
	flat_load_dword v12, v[10:11]
	v_mov_b32_e32 v8, s33
	s_waitcnt vmcnt(0) lgkmcnt(0)
	ds_write2st64_b32 v7, v1, v12 offset0:24 offset1:28
	v_add_u32_e32 v7, 0x2000, v7
	s_andn2_b64 exec, exec, s[28:29]
	s_cbranch_execnz .LBB17_7
; %bb.8:
	s_or_b64 exec, exec, s[28:29]
.LBB17_9:
	s_or_b64 exec, exec, s[8:9]
	v_and_b32_e32 v1, 3, v5
	v_cmp_ne_u32_e32 vcc, 0, v1
	s_and_saveexec_b64 s[8:9], vcc
	s_cbranch_execz .LBB17_12
; %bb.10:
	v_lshlrev_b32_e32 v5, 2, v0
	v_lshl_or_b32 v5, v8, 10, v5
	s_mov_b64 s[28:29], 0
.LBB17_11:                              ; =>This Inner Loop Header: Depth=1
	v_mul_lo_u32 v6, v2, s11
	v_mul_lo_u32 v7, v3, s11
	v_add_u32_e32 v6, s30, v6
	v_add_u32_e32 v8, s30, v7
	v_ashrrev_i32_e32 v7, 31, v6
	v_ashrrev_i32_e32 v9, 31, v8
	v_lshl_add_u64 v[6:7], v[6:7], 2, s[24:25]
	v_lshl_add_u64 v[8:9], v[8:9], 2, s[24:25]
	flat_load_dword v10, v[6:7]
	flat_load_dword v11, v[8:9]
	v_add_u32_e32 v1, -1, v1
	v_cmp_eq_u32_e32 vcc, 0, v1
	v_add_u32_e32 v3, 0x200, v3
	v_add_u32_e32 v2, 0x200, v2
	s_or_b64 s[28:29], vcc, s[28:29]
	s_waitcnt vmcnt(0) lgkmcnt(0)
	ds_write2st64_b32 v5, v10, v11 offset1:4
	v_add_u32_e32 v5, 0x800, v5
	s_andn2_b64 exec, exec, s[28:29]
	s_cbranch_execnz .LBB17_11
.LBB17_12:
	s_or_b64 exec, exec, s[8:9]
	v_add_u32_e32 v2, 1, v4
	v_and_b32_e32 v3, 0x1fffffe, v2
	v_cmp_ne_u32_e32 vcc, v2, v3
	v_lshl_or_b32 v1, v3, 8, v0
	s_orn2_b64 s[8:9], vcc, exec
.LBB17_13:
	s_or_b64 exec, exec, s[6:7]
	v_mov_b32_e32 v4, s31
	s_and_b64 s[6:7], s[8:9], exec
	s_andn2_saveexec_b64 s[8:9], s[26:27]
	s_cbranch_execz .LBB17_3
.LBB17_14:
	s_lshl_b32 s26, s11, 8
	v_mov_b32_e32 v4, s26
	s_or_b64 s[6:7], s[6:7], exec
	v_mov_b32_e32 v1, v0
	s_or_b64 exec, exec, s[8:9]
	s_and_b64 exec, exec, s[6:7]
	s_cbranch_execz .LBB17_17
.LBB17_15:
	v_mul_lo_u32 v2, v1, s11
	v_add_u32_e32 v2, s30, v2
	v_lshlrev_b32_e32 v5, 2, v1
	s_mov_b64 s[6:7], 0
.LBB17_16:                              ; =>This Inner Loop Header: Depth=1
	v_ashrrev_i32_e32 v3, 31, v2
	v_lshl_add_u64 v[6:7], v[2:3], 2, s[24:25]
	flat_load_dword v3, v[6:7]
	v_add_u32_e32 v1, 0x100, v1
	v_cmp_le_i32_e32 vcc, s21, v1
	v_add_u32_e32 v2, v2, v4
	s_or_b64 s[6:7], vcc, s[6:7]
	s_waitcnt vmcnt(0) lgkmcnt(0)
	ds_write_b32 v5, v3
	v_add_u32_e32 v5, 0x400, v5
	s_andn2_b64 exec, exec, s[6:7]
	s_cbranch_execnz .LBB17_16
.LBB17_17:
	s_or_b64 exec, exec, s[22:23]
	s_cmp_ge_i32 s10, s20
	s_waitcnt lgkmcnt(0)
	s_barrier
	s_cbranch_scc1 .LBB17_37
; %bb.18:
	s_load_dword s11, s[0:1], 0x48
	s_lshl_b64 s[0:1], s[18:19], 2
	s_add_u32 s22, s16, s0
	s_addc_u32 s23, s17, s1
	s_mul_i32 s0, s14, s3
	s_mul_hi_u32 s1, s14, s2
	s_add_i32 s0, s1, s0
	s_mul_i32 s1, s15, s2
	s_add_i32 s1, s0, s1
	s_mul_i32 s0, s14, s2
	s_lshl_b64 s[0:1], s[0:1], 2
	s_add_u32 s6, s12, s0
	s_addc_u32 s7, s13, s1
	v_mbcnt_lo_u32_b32 v2, -1, 0
	s_cmp_gt_i32 s21, 1
	v_and_b32_e32 v1, 63, v0
	v_mbcnt_hi_u32_b32 v8, -1, v2
	v_mov_b32_e32 v2, 0x80
	s_cselect_b64 s[8:9], -1, 0
	v_cmp_eq_u32_e64 s[0:1], 0, v1
	v_lshrrev_b32_e32 v1, 4, v0
	v_cmp_eq_u32_e64 s[2:3], 0, v0
	v_lshlrev_b32_e32 v4, 2, v0
	s_waitcnt lgkmcnt(0)
	v_mul_lo_u32 v5, v0, s11
	s_lshl_b32 s24, s11, 8
	v_mov_b32_e32 v6, 0x2004
	v_mov_b32_e32 v7, 0
	v_and_b32_e32 v9, 63, v8
	v_lshl_or_b32 v10, v8, 2, v2
	s_branch .LBB17_20
.LBB17_19:                              ;   in Loop: Header=BB17_20 Depth=1
	s_or_b64 exec, exec, s[14:15]
	s_add_i32 s10, s10, 64
	s_cmp_ge_i32 s10, s20
	s_cbranch_scc1 .LBB17_37
.LBB17_20:                              ; =>This Loop Header: Depth=1
                                        ;     Child Loop BB17_22 Depth 2
                                        ;     Child Loop BB17_36 Depth 2
	s_ashr_i32 s11, s10, 31
	s_lshl_b64 s[12:13], s[10:11], 2
	s_add_u32 s12, s22, s12
	s_addc_u32 s13, s23, s13
	v_mov_b32_e32 v11, 0
	s_and_saveexec_b64 s[14:15], s[4:5]
	s_cbranch_execz .LBB17_24
; %bb.21:                               ;   in Loop: Header=BB17_20 Depth=1
	v_mov_b32_e32 v11, 0
	s_mov_b64 s[16:17], 0
	v_mov_b32_e32 v2, v5
	v_mov_b32_e32 v12, v4
	v_mov_b32_e32 v13, v0
.LBB17_22:                              ;   Parent Loop BB17_20 Depth=1
                                        ; =>  This Inner Loop Header: Depth=2
	v_ashrrev_i32_e32 v3, 31, v2
	v_lshl_add_u64 v[14:15], v[2:3], 2, s[12:13]
	flat_load_dword v3, v[14:15]
	ds_read_b32 v14, v12
	v_add_u32_e32 v13, 0x100, v13
	v_cmp_le_i32_e32 vcc, s21, v13
	v_add_u32_e32 v12, 0x400, v12
	v_add_u32_e32 v2, s24, v2
	s_or_b64 s[16:17], vcc, s[16:17]
	s_waitcnt vmcnt(0) lgkmcnt(0)
	v_fmac_f32_e32 v11, v14, v3
	s_andn2_b64 exec, exec, s[16:17]
	s_cbranch_execnz .LBB17_22
; %bb.23:                               ;   in Loop: Header=BB17_20 Depth=1
	s_or_b64 exec, exec, s[16:17]
.LBB17_24:                              ;   in Loop: Header=BB17_20 Depth=1
	s_or_b64 exec, exec, s[14:15]
	s_and_b64 vcc, exec, s[8:9]
	s_cbranch_vccz .LBB17_31
; %bb.25:                               ;   in Loop: Header=BB17_20 Depth=1
	v_cmp_ne_u32_e32 vcc, 63, v9
	s_nop 1
	v_addc_co_u32_e32 v2, vcc, 0, v8, vcc
	v_lshlrev_b32_e32 v2, 2, v2
	ds_bpermute_b32 v2, v2, v11
	v_cmp_gt_u32_e32 vcc, 62, v9
	s_waitcnt lgkmcnt(0)
	v_add_f32_e32 v2, v11, v2
	v_cndmask_b32_e64 v3, 0, 2, vcc
	v_add_lshl_u32 v3, v3, v8, 2
	ds_bpermute_b32 v3, v3, v2
	v_cmp_gt_u32_e32 vcc, 60, v9
	s_waitcnt lgkmcnt(0)
	v_add_f32_e32 v2, v2, v3
	v_cndmask_b32_e64 v12, 0, 4, vcc
	v_add_lshl_u32 v12, v12, v8, 2
	;; [unrolled: 6-line block ×4, first 2 shown]
	ds_bpermute_b32 v3, v3, v2
	s_waitcnt lgkmcnt(0)
	v_add_f32_e32 v2, v2, v3
	ds_bpermute_b32 v3, v10, v2
	s_waitcnt lgkmcnt(0)
	v_add_f32_e32 v3, v2, v3
	s_and_saveexec_b64 s[14:15], s[0:1]
; %bb.26:                               ;   in Loop: Header=BB17_20 Depth=1
	ds_write_b32 v1, v3 offset:8192
; %bb.27:                               ;   in Loop: Header=BB17_20 Depth=1
	s_or_b64 exec, exec, s[14:15]
	s_mov_b64 s[16:17], 0
	s_mov_b64 s[14:15], 0
	s_waitcnt lgkmcnt(0)
	s_barrier
                                        ; implicit-def: $vgpr2
	s_and_saveexec_b64 s[18:19], s[2:3]
	s_xor_b64 s[18:19], exec, s[18:19]
	s_cbranch_execz .LBB17_29
; %bb.28:                               ;   in Loop: Header=BB17_20 Depth=1
	ds_read2_b32 v[12:13], v6 offset1:1
	ds_read_b32 v2, v7 offset:8204
	s_mov_b64 s[14:15], exec
	s_waitcnt lgkmcnt(0)
	v_add_f32_e32 v3, v3, v12
	v_add_f32_e32 v3, v3, v13
	s_waitcnt lgkmcnt(0)
	v_add_f32_e32 v2, v3, v2
.LBB17_29:                              ;   in Loop: Header=BB17_20 Depth=1
	s_or_b64 exec, exec, s[18:19]
	s_and_b64 vcc, exec, s[16:17]
	s_cbranch_vccnz .LBB17_32
.LBB17_30:                              ;   in Loop: Header=BB17_20 Depth=1
	v_mov_b32_e32 v11, v2
	s_and_saveexec_b64 s[16:17], s[14:15]
	s_cbranch_execnz .LBB17_33
	s_branch .LBB17_34
.LBB17_31:                              ;   in Loop: Header=BB17_20 Depth=1
	s_mov_b64 s[14:15], 0
                                        ; implicit-def: $vgpr2
	s_cbranch_execz .LBB17_30
.LBB17_32:                              ;   in Loop: Header=BB17_20 Depth=1
	s_andn2_b64 s[14:15], s[14:15], exec
	s_and_b64 s[16:17], s[2:3], exec
	s_or_b64 s[14:15], s[14:15], s[16:17]
	s_and_saveexec_b64 s[16:17], s[14:15]
.LBB17_33:                              ;   in Loop: Header=BB17_20 Depth=1
	ds_write_b32 v7, v11 offset:8192
.LBB17_34:                              ;   in Loop: Header=BB17_20 Depth=1
	s_or_b64 exec, exec, s[16:17]
	s_waitcnt lgkmcnt(0)
	s_barrier
	s_and_saveexec_b64 s[14:15], s[4:5]
	s_cbranch_execz .LBB17_19
; %bb.35:                               ;   in Loop: Header=BB17_20 Depth=1
	global_load_dword v3, v7, s[6:7]
	ds_read_b32 v12, v7 offset:8192
	s_mov_b64 s[16:17], 0
	v_mov_b32_e32 v11, v4
	v_mov_b32_e32 v2, v5
	;; [unrolled: 1-line block ×3, first 2 shown]
	s_waitcnt vmcnt(0) lgkmcnt(0)
	v_mul_f32_e64 v12, v12, -v3
.LBB17_36:                              ;   Parent Loop BB17_20 Depth=1
                                        ; =>  This Inner Loop Header: Depth=2
	v_ashrrev_i32_e32 v3, 31, v2
	v_lshl_add_u64 v[14:15], v[2:3], 2, s[12:13]
	flat_load_dword v3, v[14:15]
	ds_read_b32 v16, v11
	v_add_u32_e32 v13, 0x100, v13
	v_cmp_le_i32_e32 vcc, s21, v13
	v_add_u32_e32 v11, 0x400, v11
	v_add_u32_e32 v2, s24, v2
	s_or_b64 s[16:17], vcc, s[16:17]
	s_waitcnt vmcnt(0) lgkmcnt(0)
	v_fmac_f32_e32 v3, v12, v16
	flat_store_dword v[14:15], v3
	s_andn2_b64 exec, exec, s[16:17]
	s_cbranch_execnz .LBB17_36
	s_branch .LBB17_19
.LBB17_37:
	s_endpgm
	.section	.rodata,"a",@progbits
	.p2align	6, 0x0
	.amdhsa_kernel _ZN9rocsolver6v33100L23larf_right_kernel_smallILi256EfiPKPfEEvT1_S5_T2_lS5_lPKT0_lS6_lS5_l
		.amdhsa_group_segment_fixed_size 8208
		.amdhsa_private_segment_fixed_size 0
		.amdhsa_kernarg_size 88
		.amdhsa_user_sgpr_count 2
		.amdhsa_user_sgpr_dispatch_ptr 0
		.amdhsa_user_sgpr_queue_ptr 0
		.amdhsa_user_sgpr_kernarg_segment_ptr 1
		.amdhsa_user_sgpr_dispatch_id 0
		.amdhsa_user_sgpr_kernarg_preload_length 0
		.amdhsa_user_sgpr_kernarg_preload_offset 0
		.amdhsa_user_sgpr_private_segment_size 0
		.amdhsa_uses_dynamic_stack 0
		.amdhsa_enable_private_segment 0
		.amdhsa_system_sgpr_workgroup_id_x 1
		.amdhsa_system_sgpr_workgroup_id_y 1
		.amdhsa_system_sgpr_workgroup_id_z 0
		.amdhsa_system_sgpr_workgroup_info 0
		.amdhsa_system_vgpr_workitem_id 0
		.amdhsa_next_free_vgpr 17
		.amdhsa_next_free_sgpr 34
		.amdhsa_accum_offset 20
		.amdhsa_reserve_vcc 1
		.amdhsa_float_round_mode_32 0
		.amdhsa_float_round_mode_16_64 0
		.amdhsa_float_denorm_mode_32 3
		.amdhsa_float_denorm_mode_16_64 3
		.amdhsa_dx10_clamp 1
		.amdhsa_ieee_mode 1
		.amdhsa_fp16_overflow 0
		.amdhsa_tg_split 0
		.amdhsa_exception_fp_ieee_invalid_op 0
		.amdhsa_exception_fp_denorm_src 0
		.amdhsa_exception_fp_ieee_div_zero 0
		.amdhsa_exception_fp_ieee_overflow 0
		.amdhsa_exception_fp_ieee_underflow 0
		.amdhsa_exception_fp_ieee_inexact 0
		.amdhsa_exception_int_div_zero 0
	.end_amdhsa_kernel
	.section	.text._ZN9rocsolver6v33100L23larf_right_kernel_smallILi256EfiPKPfEEvT1_S5_T2_lS5_lPKT0_lS6_lS5_l,"axG",@progbits,_ZN9rocsolver6v33100L23larf_right_kernel_smallILi256EfiPKPfEEvT1_S5_T2_lS5_lPKT0_lS6_lS5_l,comdat
.Lfunc_end17:
	.size	_ZN9rocsolver6v33100L23larf_right_kernel_smallILi256EfiPKPfEEvT1_S5_T2_lS5_lPKT0_lS6_lS5_l, .Lfunc_end17-_ZN9rocsolver6v33100L23larf_right_kernel_smallILi256EfiPKPfEEvT1_S5_T2_lS5_lPKT0_lS6_lS5_l
                                        ; -- End function
	.set _ZN9rocsolver6v33100L23larf_right_kernel_smallILi256EfiPKPfEEvT1_S5_T2_lS5_lPKT0_lS6_lS5_l.num_vgpr, 17
	.set _ZN9rocsolver6v33100L23larf_right_kernel_smallILi256EfiPKPfEEvT1_S5_T2_lS5_lPKT0_lS6_lS5_l.num_agpr, 0
	.set _ZN9rocsolver6v33100L23larf_right_kernel_smallILi256EfiPKPfEEvT1_S5_T2_lS5_lPKT0_lS6_lS5_l.numbered_sgpr, 34
	.set _ZN9rocsolver6v33100L23larf_right_kernel_smallILi256EfiPKPfEEvT1_S5_T2_lS5_lPKT0_lS6_lS5_l.num_named_barrier, 0
	.set _ZN9rocsolver6v33100L23larf_right_kernel_smallILi256EfiPKPfEEvT1_S5_T2_lS5_lPKT0_lS6_lS5_l.private_seg_size, 0
	.set _ZN9rocsolver6v33100L23larf_right_kernel_smallILi256EfiPKPfEEvT1_S5_T2_lS5_lPKT0_lS6_lS5_l.uses_vcc, 1
	.set _ZN9rocsolver6v33100L23larf_right_kernel_smallILi256EfiPKPfEEvT1_S5_T2_lS5_lPKT0_lS6_lS5_l.uses_flat_scratch, 0
	.set _ZN9rocsolver6v33100L23larf_right_kernel_smallILi256EfiPKPfEEvT1_S5_T2_lS5_lPKT0_lS6_lS5_l.has_dyn_sized_stack, 0
	.set _ZN9rocsolver6v33100L23larf_right_kernel_smallILi256EfiPKPfEEvT1_S5_T2_lS5_lPKT0_lS6_lS5_l.has_recursion, 0
	.set _ZN9rocsolver6v33100L23larf_right_kernel_smallILi256EfiPKPfEEvT1_S5_T2_lS5_lPKT0_lS6_lS5_l.has_indirect_call, 0
	.section	.AMDGPU.csdata,"",@progbits
; Kernel info:
; codeLenInByte = 1948
; TotalNumSgprs: 40
; NumVgprs: 17
; NumAgprs: 0
; TotalNumVgprs: 17
; ScratchSize: 0
; MemoryBound: 0
; FloatMode: 240
; IeeeMode: 1
; LDSByteSize: 8208 bytes/workgroup (compile time only)
; SGPRBlocks: 4
; VGPRBlocks: 2
; NumSGPRsForWavesPerEU: 40
; NumVGPRsForWavesPerEU: 17
; AccumOffset: 20
; Occupancy: 8
; WaveLimiterHint : 1
; COMPUTE_PGM_RSRC2:SCRATCH_EN: 0
; COMPUTE_PGM_RSRC2:USER_SGPR: 2
; COMPUTE_PGM_RSRC2:TRAP_HANDLER: 0
; COMPUTE_PGM_RSRC2:TGID_X_EN: 1
; COMPUTE_PGM_RSRC2:TGID_Y_EN: 1
; COMPUTE_PGM_RSRC2:TGID_Z_EN: 0
; COMPUTE_PGM_RSRC2:TIDIG_COMP_CNT: 0
; COMPUTE_PGM_RSRC3_GFX90A:ACCUM_OFFSET: 4
; COMPUTE_PGM_RSRC3_GFX90A:TG_SPLIT: 0
	.section	.text._ZN9rocsolver6v33100L23larf_right_kernel_smallILi512EfiPKPfEEvT1_S5_T2_lS5_lPKT0_lS6_lS5_l,"axG",@progbits,_ZN9rocsolver6v33100L23larf_right_kernel_smallILi512EfiPKPfEEvT1_S5_T2_lS5_lPKT0_lS6_lS5_l,comdat
	.globl	_ZN9rocsolver6v33100L23larf_right_kernel_smallILi512EfiPKPfEEvT1_S5_T2_lS5_lPKT0_lS6_lS5_l ; -- Begin function _ZN9rocsolver6v33100L23larf_right_kernel_smallILi512EfiPKPfEEvT1_S5_T2_lS5_lPKT0_lS6_lS5_l
	.p2align	8
	.type	_ZN9rocsolver6v33100L23larf_right_kernel_smallILi512EfiPKPfEEvT1_S5_T2_lS5_lPKT0_lS6_lS5_l,@function
_ZN9rocsolver6v33100L23larf_right_kernel_smallILi512EfiPKPfEEvT1_S5_T2_lS5_lPKT0_lS6_lS5_l: ; @_ZN9rocsolver6v33100L23larf_right_kernel_smallILi512EfiPKPfEEvT1_S5_T2_lS5_lPKT0_lS6_lS5_l
; %bb.0:
	s_load_dwordx8 s[12:19], s[0:1], 0x28
	s_load_dwordx2 s[20:21], s[0:1], 0x0
	s_mov_b32 s10, s3
	s_ashr_i32 s3, s2, 31
	s_lshl_b64 s[6:7], s[2:3], 3
	s_waitcnt lgkmcnt(0)
	s_add_u32 s4, s16, s6
	s_addc_u32 s5, s17, s7
	s_load_dwordx2 s[16:17], s[4:5], 0x0
	v_cmp_gt_i32_e64 s[4:5], s21, v0
	s_and_saveexec_b64 s[22:23], s[4:5]
	s_cbranch_execz .LBB18_17
; %bb.1:
	s_load_dwordx4 s[24:27], s[0:1], 0x8
	s_load_dword s11, s[0:1], 0x18
	v_xad_u32 v2, v0, -1, s21
	s_movk_i32 s8, 0x2dff
	v_cmp_lt_u32_e32 vcc, s8, v2
	s_waitcnt lgkmcnt(0)
	s_add_u32 s6, s24, s6
	s_addc_u32 s7, s25, s7
	s_load_dwordx2 s[6:7], s[6:7], 0x0
	s_lshl_b64 s[8:9], s[26:27], 2
                                        ; implicit-def: $vgpr1
                                        ; implicit-def: $vgpr4
	s_waitcnt lgkmcnt(0)
	s_add_u32 s24, s6, s8
	s_addc_u32 s25, s7, s9
	s_sub_i32 s6, 1, s21
	s_mul_i32 s6, s11, s6
	s_cmp_lt_i32 s11, 1
	s_cselect_b32 s30, s6, 0
	s_mov_b64 s[6:7], 0
	s_and_saveexec_b64 s[8:9], vcc
	s_xor_b64 s[26:27], exec, s[8:9]
	s_cbranch_execnz .LBB18_4
; %bb.2:
	s_andn2_saveexec_b64 s[8:9], s[26:27]
	s_cbranch_execnz .LBB18_14
.LBB18_3:
	s_or_b64 exec, exec, s[8:9]
	s_and_b64 exec, exec, s[6:7]
	s_cbranch_execnz .LBB18_15
	s_branch .LBB18_17
.LBB18_4:
	s_lshl_b32 s31, s11, 9
	s_sub_i32 s8, 0, s31
	s_cmp_lt_i32 s31, 0
	s_cselect_b64 vcc, -1, 0
	s_and_b64 s[6:7], vcc, exec
	v_lshrrev_b32_e32 v4, 9, v2
	s_cselect_b32 s8, s8, s31
	v_mul_lo_u32 v1, v0, s11
	v_mul_hi_u32 v2, s8, v4
	v_add_u32_e32 v1, s30, v1
	v_cmp_eq_u32_e64 s[6:7], 0, v2
	v_mul_lo_u32 v2, s8, v4
	v_add_u32_e32 v3, v1, v2
	v_sub_u32_e32 v2, v1, v2
	v_cmp_gt_i32_e64 s[8:9], v2, v1
	s_nop 1
	v_cndmask_b32_e64 v2, 0, 1, s[8:9]
	v_cmp_lt_i32_e64 s[8:9], v3, v1
	s_nop 1
	v_cndmask_b32_e64 v1, 0, 1, s[8:9]
	v_cndmask_b32_e32 v1, v1, v2, vcc
	v_and_b32_e32 v1, 1, v1
	v_cmp_eq_u32_e32 vcc, 1, v1
	s_xor_b64 s[28:29], vcc, -1
	s_mov_b64 s[8:9], -1
	s_and_b64 s[28:29], s[28:29], s[6:7]
	v_mov_b32_e32 v1, v0
	s_and_saveexec_b64 s[6:7], s[28:29]
	s_cbranch_execz .LBB18_13
; %bb.5:
	v_add_u32_e32 v2, -1, v4
	v_or_b32_e32 v1, 0x200, v0
	v_lshrrev_b32_e32 v3, 1, v2
	s_mov_b32 s33, 0
	v_add_u32_e32 v5, 1, v3
	v_cmp_lt_u32_e32 vcc, 5, v2
	v_mov_b32_e32 v8, 0
	v_mov_b64_e32 v[2:3], v[0:1]
	s_and_saveexec_b64 s[8:9], vcc
	s_cbranch_execz .LBB18_9
; %bb.6:
	v_and_b32_e32 v6, -4, v5
	v_lshlrev_b32_e32 v7, 2, v0
	s_mov_b64 s[28:29], 0
	v_mov_b64_e32 v[2:3], v[0:1]
.LBB18_7:                               ; =>This Inner Loop Header: Depth=1
	v_mul_lo_u32 v8, v2, s11
	v_mul_lo_u32 v1, v3, s11
	v_add_u32_e32 v8, s30, v8
	v_add_u32_e32 v10, s30, v1
	v_ashrrev_i32_e32 v9, 31, v8
	v_ashrrev_i32_e32 v11, 31, v10
	v_lshl_add_u64 v[8:9], v[8:9], 2, s[24:25]
	v_lshl_add_u64 v[10:11], v[10:11], 2, s[24:25]
	flat_load_dword v1, v[8:9]
	flat_load_dword v12, v[10:11]
	v_add_u32_e32 v8, 0x400, v2
	v_add_u32_e32 v9, 0x400, v3
	v_mul_lo_u32 v8, v8, s11
	v_mul_lo_u32 v9, v9, s11
	v_add_u32_e32 v8, s30, v8
	v_add_u32_e32 v10, s30, v9
	v_ashrrev_i32_e32 v9, 31, v8
	v_ashrrev_i32_e32 v11, 31, v10
	v_lshl_add_u64 v[8:9], v[8:9], 2, s[24:25]
	v_lshl_add_u64 v[10:11], v[10:11], 2, s[24:25]
	v_add_u32_e32 v6, -4, v6
	s_add_i32 s33, s33, 8
	v_cmp_eq_u32_e32 vcc, 0, v6
	s_or_b64 s[28:29], vcc, s[28:29]
	s_waitcnt vmcnt(0) lgkmcnt(0)
	ds_write2st64_b32 v7, v1, v12 offset1:8
	flat_load_dword v1, v[8:9]
	flat_load_dword v12, v[10:11]
	v_add_u32_e32 v8, 0x800, v2
	v_add_u32_e32 v9, 0x800, v3
	v_mul_lo_u32 v8, v8, s11
	v_mul_lo_u32 v9, v9, s11
	v_add_u32_e32 v8, s30, v8
	v_add_u32_e32 v10, s30, v9
	v_ashrrev_i32_e32 v9, 31, v8
	v_ashrrev_i32_e32 v11, 31, v10
	v_lshl_add_u64 v[8:9], v[8:9], 2, s[24:25]
	v_lshl_add_u64 v[10:11], v[10:11], 2, s[24:25]
	s_waitcnt vmcnt(0) lgkmcnt(0)
	ds_write2st64_b32 v7, v1, v12 offset0:16 offset1:24
	flat_load_dword v1, v[8:9]
	flat_load_dword v12, v[10:11]
	v_add_u32_e32 v8, 0xc00, v2
	v_add_u32_e32 v9, 0xc00, v3
	v_mul_lo_u32 v8, v8, s11
	v_mul_lo_u32 v9, v9, s11
	v_add_u32_e32 v8, s30, v8
	v_add_u32_e32 v10, s30, v9
	v_ashrrev_i32_e32 v9, 31, v8
	v_ashrrev_i32_e32 v11, 31, v10
	v_lshl_add_u64 v[8:9], v[8:9], 2, s[24:25]
	v_lshl_add_u64 v[10:11], v[10:11], 2, s[24:25]
	v_add_u32_e32 v3, 0x1000, v3
	v_add_u32_e32 v2, 0x1000, v2
	s_waitcnt vmcnt(0) lgkmcnt(0)
	ds_write2st64_b32 v7, v1, v12 offset0:32 offset1:40
	flat_load_dword v1, v[8:9]
	flat_load_dword v12, v[10:11]
	v_mov_b32_e32 v8, s33
	s_waitcnt vmcnt(0) lgkmcnt(0)
	ds_write2st64_b32 v7, v1, v12 offset0:48 offset1:56
	v_add_u32_e32 v7, 0x4000, v7
	s_andn2_b64 exec, exec, s[28:29]
	s_cbranch_execnz .LBB18_7
; %bb.8:
	s_or_b64 exec, exec, s[28:29]
.LBB18_9:
	s_or_b64 exec, exec, s[8:9]
	v_and_b32_e32 v1, 3, v5
	v_cmp_ne_u32_e32 vcc, 0, v1
	s_and_saveexec_b64 s[8:9], vcc
	s_cbranch_execz .LBB18_12
; %bb.10:
	v_lshlrev_b32_e32 v5, 2, v0
	v_lshl_or_b32 v5, v8, 11, v5
	s_mov_b64 s[28:29], 0
.LBB18_11:                              ; =>This Inner Loop Header: Depth=1
	v_mul_lo_u32 v6, v2, s11
	v_mul_lo_u32 v7, v3, s11
	v_add_u32_e32 v6, s30, v6
	v_add_u32_e32 v8, s30, v7
	v_ashrrev_i32_e32 v7, 31, v6
	v_ashrrev_i32_e32 v9, 31, v8
	v_lshl_add_u64 v[6:7], v[6:7], 2, s[24:25]
	v_lshl_add_u64 v[8:9], v[8:9], 2, s[24:25]
	flat_load_dword v10, v[6:7]
	flat_load_dword v11, v[8:9]
	v_add_u32_e32 v1, -1, v1
	v_cmp_eq_u32_e32 vcc, 0, v1
	v_add_u32_e32 v3, 0x400, v3
	v_add_u32_e32 v2, 0x400, v2
	s_or_b64 s[28:29], vcc, s[28:29]
	s_waitcnt vmcnt(0) lgkmcnt(0)
	ds_write2st64_b32 v5, v10, v11 offset1:8
	v_add_u32_e32 v5, 0x1000, v5
	s_andn2_b64 exec, exec, s[28:29]
	s_cbranch_execnz .LBB18_11
.LBB18_12:
	s_or_b64 exec, exec, s[8:9]
	v_add_u32_e32 v2, 1, v4
	v_and_b32_e32 v3, 0xfffffe, v2
	v_cmp_ne_u32_e32 vcc, v2, v3
	v_lshl_or_b32 v1, v3, 9, v0
	s_orn2_b64 s[8:9], vcc, exec
.LBB18_13:
	s_or_b64 exec, exec, s[6:7]
	v_mov_b32_e32 v4, s31
	s_and_b64 s[6:7], s[8:9], exec
	s_andn2_saveexec_b64 s[8:9], s[26:27]
	s_cbranch_execz .LBB18_3
.LBB18_14:
	s_lshl_b32 s26, s11, 9
	v_mov_b32_e32 v4, s26
	s_or_b64 s[6:7], s[6:7], exec
	v_mov_b32_e32 v1, v0
	s_or_b64 exec, exec, s[8:9]
	s_and_b64 exec, exec, s[6:7]
	s_cbranch_execz .LBB18_17
.LBB18_15:
	v_mul_lo_u32 v2, v1, s11
	v_add_u32_e32 v2, s30, v2
	v_lshlrev_b32_e32 v5, 2, v1
	s_mov_b64 s[6:7], 0
.LBB18_16:                              ; =>This Inner Loop Header: Depth=1
	v_ashrrev_i32_e32 v3, 31, v2
	v_lshl_add_u64 v[6:7], v[2:3], 2, s[24:25]
	flat_load_dword v3, v[6:7]
	v_add_u32_e32 v1, 0x200, v1
	v_cmp_le_i32_e32 vcc, s21, v1
	v_add_u32_e32 v2, v2, v4
	s_or_b64 s[6:7], vcc, s[6:7]
	s_waitcnt vmcnt(0) lgkmcnt(0)
	ds_write_b32 v5, v3
	v_add_u32_e32 v5, 0x800, v5
	s_andn2_b64 exec, exec, s[6:7]
	s_cbranch_execnz .LBB18_16
.LBB18_17:
	s_or_b64 exec, exec, s[22:23]
	s_cmp_ge_i32 s10, s20
	s_waitcnt lgkmcnt(0)
	s_barrier
	s_cbranch_scc1 .LBB18_37
; %bb.18:
	s_load_dword s11, s[0:1], 0x48
	s_lshl_b64 s[0:1], s[18:19], 2
	s_add_u32 s22, s16, s0
	s_addc_u32 s23, s17, s1
	s_mul_i32 s0, s14, s3
	s_mul_hi_u32 s1, s14, s2
	s_add_i32 s0, s1, s0
	s_mul_i32 s1, s15, s2
	s_add_i32 s1, s0, s1
	s_mul_i32 s0, s14, s2
	s_lshl_b64 s[0:1], s[0:1], 2
	s_add_u32 s6, s12, s0
	s_addc_u32 s7, s13, s1
	v_mbcnt_lo_u32_b32 v2, -1, 0
	s_cmp_gt_i32 s21, 1
	v_and_b32_e32 v1, 63, v0
	v_mbcnt_hi_u32_b32 v10, -1, v2
	v_mov_b32_e32 v2, 0x80
	s_cselect_b64 s[8:9], -1, 0
	v_cmp_eq_u32_e64 s[0:1], 0, v1
	v_lshrrev_b32_e32 v1, 4, v0
	v_cmp_eq_u32_e64 s[2:3], 0, v0
	v_lshlrev_b32_e32 v4, 2, v0
	s_waitcnt lgkmcnt(0)
	v_mul_lo_u32 v5, v0, s11
	s_lshl_b32 s24, s11, 9
	v_mov_b32_e32 v6, 0x2004
	v_mov_b32_e32 v7, 0x200c
	;; [unrolled: 1-line block ×4, first 2 shown]
	v_and_b32_e32 v11, 63, v10
	v_lshl_or_b32 v12, v10, 2, v2
	s_branch .LBB18_20
.LBB18_19:                              ;   in Loop: Header=BB18_20 Depth=1
	s_or_b64 exec, exec, s[14:15]
	s_add_i32 s10, s10, 64
	s_cmp_ge_i32 s10, s20
	s_cbranch_scc1 .LBB18_37
.LBB18_20:                              ; =>This Loop Header: Depth=1
                                        ;     Child Loop BB18_22 Depth 2
                                        ;     Child Loop BB18_36 Depth 2
	s_ashr_i32 s11, s10, 31
	s_lshl_b64 s[12:13], s[10:11], 2
	s_add_u32 s12, s22, s12
	s_addc_u32 s13, s23, s13
	v_mov_b32_e32 v13, 0
	s_and_saveexec_b64 s[14:15], s[4:5]
	s_cbranch_execz .LBB18_24
; %bb.21:                               ;   in Loop: Header=BB18_20 Depth=1
	v_mov_b32_e32 v13, 0
	s_mov_b64 s[16:17], 0
	v_mov_b32_e32 v2, v5
	v_mov_b32_e32 v14, v4
	;; [unrolled: 1-line block ×3, first 2 shown]
.LBB18_22:                              ;   Parent Loop BB18_20 Depth=1
                                        ; =>  This Inner Loop Header: Depth=2
	v_ashrrev_i32_e32 v3, 31, v2
	v_lshl_add_u64 v[16:17], v[2:3], 2, s[12:13]
	flat_load_dword v3, v[16:17]
	ds_read_b32 v16, v14
	v_add_u32_e32 v15, 0x200, v15
	v_cmp_le_i32_e32 vcc, s21, v15
	v_add_u32_e32 v14, 0x800, v14
	v_add_u32_e32 v2, s24, v2
	s_or_b64 s[16:17], vcc, s[16:17]
	s_waitcnt vmcnt(0) lgkmcnt(0)
	v_fmac_f32_e32 v13, v16, v3
	s_andn2_b64 exec, exec, s[16:17]
	s_cbranch_execnz .LBB18_22
; %bb.23:                               ;   in Loop: Header=BB18_20 Depth=1
	s_or_b64 exec, exec, s[16:17]
.LBB18_24:                              ;   in Loop: Header=BB18_20 Depth=1
	s_or_b64 exec, exec, s[14:15]
	s_and_b64 vcc, exec, s[8:9]
	s_cbranch_vccz .LBB18_31
; %bb.25:                               ;   in Loop: Header=BB18_20 Depth=1
	v_cmp_ne_u32_e32 vcc, 63, v11
	s_nop 1
	v_addc_co_u32_e32 v2, vcc, 0, v10, vcc
	v_lshlrev_b32_e32 v2, 2, v2
	ds_bpermute_b32 v2, v2, v13
	v_cmp_gt_u32_e32 vcc, 62, v11
	s_waitcnt lgkmcnt(0)
	v_add_f32_e32 v2, v13, v2
	v_cndmask_b32_e64 v3, 0, 2, vcc
	v_add_lshl_u32 v3, v3, v10, 2
	ds_bpermute_b32 v3, v3, v2
	v_cmp_gt_u32_e32 vcc, 60, v11
	s_waitcnt lgkmcnt(0)
	v_add_f32_e32 v2, v2, v3
	v_cndmask_b32_e64 v14, 0, 4, vcc
	v_add_lshl_u32 v14, v14, v10, 2
	;; [unrolled: 6-line block ×4, first 2 shown]
	ds_bpermute_b32 v3, v3, v2
	s_waitcnt lgkmcnt(0)
	v_add_f32_e32 v2, v2, v3
	ds_bpermute_b32 v3, v12, v2
	s_waitcnt lgkmcnt(0)
	v_add_f32_e32 v2, v2, v3
	s_and_saveexec_b64 s[14:15], s[0:1]
; %bb.26:                               ;   in Loop: Header=BB18_20 Depth=1
	ds_write_b32 v1, v2 offset:8192
; %bb.27:                               ;   in Loop: Header=BB18_20 Depth=1
	s_or_b64 exec, exec, s[14:15]
	s_mov_b64 s[16:17], 0
	s_mov_b64 s[14:15], 0
	s_waitcnt lgkmcnt(0)
	s_barrier
                                        ; implicit-def: $vgpr3
	s_and_saveexec_b64 s[18:19], s[2:3]
	s_xor_b64 s[18:19], exec, s[18:19]
	s_cbranch_execz .LBB18_29
; %bb.28:                               ;   in Loop: Header=BB18_20 Depth=1
	ds_read2_b32 v[14:15], v6 offset1:1
	ds_read2_b32 v[16:17], v7 offset1:1
	;; [unrolled: 1-line block ×3, first 2 shown]
	ds_read_b32 v3, v9 offset:8220
	s_mov_b64 s[14:15], exec
	s_waitcnt lgkmcnt(0)
	v_add_f32_e32 v2, v2, v14
	v_add_f32_e32 v2, v2, v15
	s_waitcnt lgkmcnt(2)
	v_add_f32_e32 v2, v2, v16
	v_add_f32_e32 v2, v2, v17
	;; [unrolled: 3-line block ×3, first 2 shown]
	s_waitcnt lgkmcnt(0)
	v_add_f32_e32 v3, v2, v3
.LBB18_29:                              ;   in Loop: Header=BB18_20 Depth=1
	s_or_b64 exec, exec, s[18:19]
	s_and_b64 vcc, exec, s[16:17]
	s_cbranch_vccnz .LBB18_32
.LBB18_30:                              ;   in Loop: Header=BB18_20 Depth=1
	v_mov_b32_e32 v13, v3
	s_and_saveexec_b64 s[16:17], s[14:15]
	s_cbranch_execnz .LBB18_33
	s_branch .LBB18_34
.LBB18_31:                              ;   in Loop: Header=BB18_20 Depth=1
	s_mov_b64 s[14:15], 0
                                        ; implicit-def: $vgpr3
	s_cbranch_execz .LBB18_30
.LBB18_32:                              ;   in Loop: Header=BB18_20 Depth=1
	s_andn2_b64 s[14:15], s[14:15], exec
	s_and_b64 s[16:17], s[2:3], exec
	s_or_b64 s[14:15], s[14:15], s[16:17]
	s_and_saveexec_b64 s[16:17], s[14:15]
.LBB18_33:                              ;   in Loop: Header=BB18_20 Depth=1
	ds_write_b32 v9, v13 offset:8192
.LBB18_34:                              ;   in Loop: Header=BB18_20 Depth=1
	s_or_b64 exec, exec, s[16:17]
	s_waitcnt lgkmcnt(0)
	s_barrier
	s_and_saveexec_b64 s[14:15], s[4:5]
	s_cbranch_execz .LBB18_19
; %bb.35:                               ;   in Loop: Header=BB18_20 Depth=1
	global_load_dword v3, v9, s[6:7]
	ds_read_b32 v14, v9 offset:8192
	s_mov_b64 s[16:17], 0
	v_mov_b32_e32 v13, v4
	v_mov_b32_e32 v2, v5
	;; [unrolled: 1-line block ×3, first 2 shown]
	s_waitcnt vmcnt(0) lgkmcnt(0)
	v_mul_f32_e64 v14, v14, -v3
.LBB18_36:                              ;   Parent Loop BB18_20 Depth=1
                                        ; =>  This Inner Loop Header: Depth=2
	v_ashrrev_i32_e32 v3, 31, v2
	v_lshl_add_u64 v[16:17], v[2:3], 2, s[12:13]
	flat_load_dword v3, v[16:17]
	ds_read_b32 v18, v13
	v_add_u32_e32 v15, 0x200, v15
	v_cmp_le_i32_e32 vcc, s21, v15
	v_add_u32_e32 v13, 0x800, v13
	v_add_u32_e32 v2, s24, v2
	s_or_b64 s[16:17], vcc, s[16:17]
	s_waitcnt vmcnt(0) lgkmcnt(0)
	v_fmac_f32_e32 v3, v14, v18
	flat_store_dword v[16:17], v3
	s_andn2_b64 exec, exec, s[16:17]
	s_cbranch_execnz .LBB18_36
	s_branch .LBB18_19
.LBB18_37:
	s_endpgm
	.section	.rodata,"a",@progbits
	.p2align	6, 0x0
	.amdhsa_kernel _ZN9rocsolver6v33100L23larf_right_kernel_smallILi512EfiPKPfEEvT1_S5_T2_lS5_lPKT0_lS6_lS5_l
		.amdhsa_group_segment_fixed_size 8224
		.amdhsa_private_segment_fixed_size 0
		.amdhsa_kernarg_size 88
		.amdhsa_user_sgpr_count 2
		.amdhsa_user_sgpr_dispatch_ptr 0
		.amdhsa_user_sgpr_queue_ptr 0
		.amdhsa_user_sgpr_kernarg_segment_ptr 1
		.amdhsa_user_sgpr_dispatch_id 0
		.amdhsa_user_sgpr_kernarg_preload_length 0
		.amdhsa_user_sgpr_kernarg_preload_offset 0
		.amdhsa_user_sgpr_private_segment_size 0
		.amdhsa_uses_dynamic_stack 0
		.amdhsa_enable_private_segment 0
		.amdhsa_system_sgpr_workgroup_id_x 1
		.amdhsa_system_sgpr_workgroup_id_y 1
		.amdhsa_system_sgpr_workgroup_id_z 0
		.amdhsa_system_sgpr_workgroup_info 0
		.amdhsa_system_vgpr_workitem_id 0
		.amdhsa_next_free_vgpr 20
		.amdhsa_next_free_sgpr 34
		.amdhsa_accum_offset 20
		.amdhsa_reserve_vcc 1
		.amdhsa_float_round_mode_32 0
		.amdhsa_float_round_mode_16_64 0
		.amdhsa_float_denorm_mode_32 3
		.amdhsa_float_denorm_mode_16_64 3
		.amdhsa_dx10_clamp 1
		.amdhsa_ieee_mode 1
		.amdhsa_fp16_overflow 0
		.amdhsa_tg_split 0
		.amdhsa_exception_fp_ieee_invalid_op 0
		.amdhsa_exception_fp_denorm_src 0
		.amdhsa_exception_fp_ieee_div_zero 0
		.amdhsa_exception_fp_ieee_overflow 0
		.amdhsa_exception_fp_ieee_underflow 0
		.amdhsa_exception_fp_ieee_inexact 0
		.amdhsa_exception_int_div_zero 0
	.end_amdhsa_kernel
	.section	.text._ZN9rocsolver6v33100L23larf_right_kernel_smallILi512EfiPKPfEEvT1_S5_T2_lS5_lPKT0_lS6_lS5_l,"axG",@progbits,_ZN9rocsolver6v33100L23larf_right_kernel_smallILi512EfiPKPfEEvT1_S5_T2_lS5_lPKT0_lS6_lS5_l,comdat
.Lfunc_end18:
	.size	_ZN9rocsolver6v33100L23larf_right_kernel_smallILi512EfiPKPfEEvT1_S5_T2_lS5_lPKT0_lS6_lS5_l, .Lfunc_end18-_ZN9rocsolver6v33100L23larf_right_kernel_smallILi512EfiPKPfEEvT1_S5_T2_lS5_lPKT0_lS6_lS5_l
                                        ; -- End function
	.set _ZN9rocsolver6v33100L23larf_right_kernel_smallILi512EfiPKPfEEvT1_S5_T2_lS5_lPKT0_lS6_lS5_l.num_vgpr, 20
	.set _ZN9rocsolver6v33100L23larf_right_kernel_smallILi512EfiPKPfEEvT1_S5_T2_lS5_lPKT0_lS6_lS5_l.num_agpr, 0
	.set _ZN9rocsolver6v33100L23larf_right_kernel_smallILi512EfiPKPfEEvT1_S5_T2_lS5_lPKT0_lS6_lS5_l.numbered_sgpr, 34
	.set _ZN9rocsolver6v33100L23larf_right_kernel_smallILi512EfiPKPfEEvT1_S5_T2_lS5_lPKT0_lS6_lS5_l.num_named_barrier, 0
	.set _ZN9rocsolver6v33100L23larf_right_kernel_smallILi512EfiPKPfEEvT1_S5_T2_lS5_lPKT0_lS6_lS5_l.private_seg_size, 0
	.set _ZN9rocsolver6v33100L23larf_right_kernel_smallILi512EfiPKPfEEvT1_S5_T2_lS5_lPKT0_lS6_lS5_l.uses_vcc, 1
	.set _ZN9rocsolver6v33100L23larf_right_kernel_smallILi512EfiPKPfEEvT1_S5_T2_lS5_lPKT0_lS6_lS5_l.uses_flat_scratch, 0
	.set _ZN9rocsolver6v33100L23larf_right_kernel_smallILi512EfiPKPfEEvT1_S5_T2_lS5_lPKT0_lS6_lS5_l.has_dyn_sized_stack, 0
	.set _ZN9rocsolver6v33100L23larf_right_kernel_smallILi512EfiPKPfEEvT1_S5_T2_lS5_lPKT0_lS6_lS5_l.has_recursion, 0
	.set _ZN9rocsolver6v33100L23larf_right_kernel_smallILi512EfiPKPfEEvT1_S5_T2_lS5_lPKT0_lS6_lS5_l.has_indirect_call, 0
	.section	.AMDGPU.csdata,"",@progbits
; Kernel info:
; codeLenInByte = 2004
; TotalNumSgprs: 40
; NumVgprs: 20
; NumAgprs: 0
; TotalNumVgprs: 20
; ScratchSize: 0
; MemoryBound: 0
; FloatMode: 240
; IeeeMode: 1
; LDSByteSize: 8224 bytes/workgroup (compile time only)
; SGPRBlocks: 4
; VGPRBlocks: 2
; NumSGPRsForWavesPerEU: 40
; NumVGPRsForWavesPerEU: 20
; AccumOffset: 20
; Occupancy: 8
; WaveLimiterHint : 1
; COMPUTE_PGM_RSRC2:SCRATCH_EN: 0
; COMPUTE_PGM_RSRC2:USER_SGPR: 2
; COMPUTE_PGM_RSRC2:TRAP_HANDLER: 0
; COMPUTE_PGM_RSRC2:TGID_X_EN: 1
; COMPUTE_PGM_RSRC2:TGID_Y_EN: 1
; COMPUTE_PGM_RSRC2:TGID_Z_EN: 0
; COMPUTE_PGM_RSRC2:TIDIG_COMP_CNT: 0
; COMPUTE_PGM_RSRC3_GFX90A:ACCUM_OFFSET: 4
; COMPUTE_PGM_RSRC3_GFX90A:TG_SPLIT: 0
	.section	.text._ZN9rocsolver6v33100L23larf_right_kernel_smallILi1024EfiPKPfEEvT1_S5_T2_lS5_lPKT0_lS6_lS5_l,"axG",@progbits,_ZN9rocsolver6v33100L23larf_right_kernel_smallILi1024EfiPKPfEEvT1_S5_T2_lS5_lPKT0_lS6_lS5_l,comdat
	.globl	_ZN9rocsolver6v33100L23larf_right_kernel_smallILi1024EfiPKPfEEvT1_S5_T2_lS5_lPKT0_lS6_lS5_l ; -- Begin function _ZN9rocsolver6v33100L23larf_right_kernel_smallILi1024EfiPKPfEEvT1_S5_T2_lS5_lPKT0_lS6_lS5_l
	.p2align	8
	.type	_ZN9rocsolver6v33100L23larf_right_kernel_smallILi1024EfiPKPfEEvT1_S5_T2_lS5_lPKT0_lS6_lS5_l,@function
_ZN9rocsolver6v33100L23larf_right_kernel_smallILi1024EfiPKPfEEvT1_S5_T2_lS5_lPKT0_lS6_lS5_l: ; @_ZN9rocsolver6v33100L23larf_right_kernel_smallILi1024EfiPKPfEEvT1_S5_T2_lS5_lPKT0_lS6_lS5_l
; %bb.0:
	s_load_dwordx8 s[12:19], s[0:1], 0x28
	s_load_dwordx2 s[20:21], s[0:1], 0x0
	s_mov_b32 s10, s3
	s_ashr_i32 s3, s2, 31
	s_lshl_b64 s[6:7], s[2:3], 3
	s_waitcnt lgkmcnt(0)
	s_add_u32 s4, s16, s6
	s_addc_u32 s5, s17, s7
	s_load_dwordx2 s[16:17], s[4:5], 0x0
	v_cmp_gt_i32_e64 s[4:5], s21, v0
	s_and_saveexec_b64 s[22:23], s[4:5]
	s_cbranch_execz .LBB19_17
; %bb.1:
	s_load_dwordx4 s[24:27], s[0:1], 0x8
	s_load_dword s11, s[0:1], 0x18
	v_xad_u32 v2, v0, -1, s21
	s_movk_i32 s8, 0x5bff
	v_cmp_lt_u32_e32 vcc, s8, v2
	s_waitcnt lgkmcnt(0)
	s_add_u32 s6, s24, s6
	s_addc_u32 s7, s25, s7
	s_load_dwordx2 s[6:7], s[6:7], 0x0
	s_lshl_b64 s[8:9], s[26:27], 2
                                        ; implicit-def: $vgpr1
                                        ; implicit-def: $vgpr4
	s_waitcnt lgkmcnt(0)
	s_add_u32 s24, s6, s8
	s_addc_u32 s25, s7, s9
	s_sub_i32 s6, 1, s21
	s_mul_i32 s6, s11, s6
	s_cmp_lt_i32 s11, 1
	s_cselect_b32 s30, s6, 0
	s_mov_b64 s[6:7], 0
	s_and_saveexec_b64 s[8:9], vcc
	s_xor_b64 s[26:27], exec, s[8:9]
	s_cbranch_execnz .LBB19_4
; %bb.2:
	s_andn2_saveexec_b64 s[8:9], s[26:27]
	s_cbranch_execnz .LBB19_14
.LBB19_3:
	s_or_b64 exec, exec, s[8:9]
	s_and_b64 exec, exec, s[6:7]
	s_cbranch_execnz .LBB19_15
	s_branch .LBB19_17
.LBB19_4:
	s_lshl_b32 s31, s11, 10
	s_sub_i32 s8, 0, s31
	s_cmp_lt_i32 s31, 0
	s_cselect_b64 vcc, -1, 0
	s_and_b64 s[6:7], vcc, exec
	v_lshrrev_b32_e32 v4, 10, v2
	s_cselect_b32 s8, s8, s31
	v_mul_lo_u32 v1, v0, s11
	v_mul_hi_u32 v2, s8, v4
	v_add_u32_e32 v1, s30, v1
	v_cmp_eq_u32_e64 s[6:7], 0, v2
	v_mul_lo_u32 v2, s8, v4
	v_add_u32_e32 v3, v1, v2
	v_sub_u32_e32 v2, v1, v2
	v_cmp_gt_i32_e64 s[8:9], v2, v1
	s_nop 1
	v_cndmask_b32_e64 v2, 0, 1, s[8:9]
	v_cmp_lt_i32_e64 s[8:9], v3, v1
	s_nop 1
	v_cndmask_b32_e64 v1, 0, 1, s[8:9]
	v_cndmask_b32_e32 v1, v1, v2, vcc
	v_and_b32_e32 v1, 1, v1
	v_cmp_eq_u32_e32 vcc, 1, v1
	s_xor_b64 s[28:29], vcc, -1
	s_mov_b64 s[8:9], -1
	s_and_b64 s[28:29], s[28:29], s[6:7]
	v_mov_b32_e32 v1, v0
	s_and_saveexec_b64 s[6:7], s[28:29]
	s_cbranch_execz .LBB19_13
; %bb.5:
	v_add_u32_e32 v2, -1, v4
	v_or_b32_e32 v1, 0x400, v0
	v_lshrrev_b32_e32 v3, 1, v2
	s_mov_b32 s33, 0
	v_add_u32_e32 v5, 1, v3
	v_cmp_lt_u32_e32 vcc, 5, v2
	v_mov_b32_e32 v8, 0
	v_mov_b64_e32 v[2:3], v[0:1]
	s_and_saveexec_b64 s[8:9], vcc
	s_cbranch_execz .LBB19_9
; %bb.6:
	v_and_b32_e32 v6, -4, v5
	v_lshlrev_b32_e32 v7, 2, v0
	s_mov_b64 s[28:29], 0
	v_mov_b64_e32 v[2:3], v[0:1]
.LBB19_7:                               ; =>This Inner Loop Header: Depth=1
	v_mul_lo_u32 v8, v2, s11
	v_mul_lo_u32 v1, v3, s11
	v_add_u32_e32 v8, s30, v8
	v_add_u32_e32 v10, s30, v1
	v_ashrrev_i32_e32 v9, 31, v8
	v_ashrrev_i32_e32 v11, 31, v10
	v_lshl_add_u64 v[8:9], v[8:9], 2, s[24:25]
	v_lshl_add_u64 v[10:11], v[10:11], 2, s[24:25]
	flat_load_dword v1, v[8:9]
	flat_load_dword v12, v[10:11]
	v_add_u32_e32 v8, 0x800, v2
	v_add_u32_e32 v9, 0x800, v3
	v_mul_lo_u32 v8, v8, s11
	v_mul_lo_u32 v9, v9, s11
	v_add_u32_e32 v8, s30, v8
	v_add_u32_e32 v10, s30, v9
	v_ashrrev_i32_e32 v9, 31, v8
	v_ashrrev_i32_e32 v11, 31, v10
	v_lshl_add_u64 v[8:9], v[8:9], 2, s[24:25]
	v_lshl_add_u64 v[10:11], v[10:11], 2, s[24:25]
	v_add_u32_e32 v6, -4, v6
	s_add_i32 s33, s33, 8
	v_cmp_eq_u32_e32 vcc, 0, v6
	s_or_b64 s[28:29], vcc, s[28:29]
	s_waitcnt vmcnt(0) lgkmcnt(0)
	ds_write2st64_b32 v7, v1, v12 offset1:16
	flat_load_dword v1, v[8:9]
	flat_load_dword v12, v[10:11]
	v_add_u32_e32 v8, 0x1000, v2
	v_add_u32_e32 v9, 0x1000, v3
	v_mul_lo_u32 v8, v8, s11
	v_mul_lo_u32 v9, v9, s11
	v_add_u32_e32 v8, s30, v8
	v_add_u32_e32 v10, s30, v9
	v_ashrrev_i32_e32 v9, 31, v8
	v_ashrrev_i32_e32 v11, 31, v10
	v_lshl_add_u64 v[8:9], v[8:9], 2, s[24:25]
	v_lshl_add_u64 v[10:11], v[10:11], 2, s[24:25]
	s_waitcnt vmcnt(0) lgkmcnt(0)
	ds_write2st64_b32 v7, v1, v12 offset0:32 offset1:48
	flat_load_dword v1, v[8:9]
	flat_load_dword v12, v[10:11]
	v_add_u32_e32 v8, 0x1800, v2
	v_add_u32_e32 v9, 0x1800, v3
	v_mul_lo_u32 v8, v8, s11
	v_mul_lo_u32 v9, v9, s11
	v_add_u32_e32 v8, s30, v8
	v_add_u32_e32 v10, s30, v9
	v_ashrrev_i32_e32 v9, 31, v8
	v_ashrrev_i32_e32 v11, 31, v10
	v_lshl_add_u64 v[8:9], v[8:9], 2, s[24:25]
	v_lshl_add_u64 v[10:11], v[10:11], 2, s[24:25]
	v_add_u32_e32 v3, 0x2000, v3
	v_add_u32_e32 v2, 0x2000, v2
	s_waitcnt vmcnt(0) lgkmcnt(0)
	ds_write2st64_b32 v7, v1, v12 offset0:64 offset1:80
	flat_load_dword v1, v[8:9]
	flat_load_dword v12, v[10:11]
	v_mov_b32_e32 v8, s33
	s_waitcnt vmcnt(0) lgkmcnt(0)
	ds_write2st64_b32 v7, v1, v12 offset0:96 offset1:112
	v_add_u32_e32 v7, 0x8000, v7
	s_andn2_b64 exec, exec, s[28:29]
	s_cbranch_execnz .LBB19_7
; %bb.8:
	s_or_b64 exec, exec, s[28:29]
.LBB19_9:
	s_or_b64 exec, exec, s[8:9]
	v_and_b32_e32 v1, 3, v5
	v_cmp_ne_u32_e32 vcc, 0, v1
	s_and_saveexec_b64 s[8:9], vcc
	s_cbranch_execz .LBB19_12
; %bb.10:
	v_lshlrev_b32_e32 v5, 2, v0
	v_lshl_or_b32 v5, v8, 12, v5
	s_mov_b64 s[28:29], 0
.LBB19_11:                              ; =>This Inner Loop Header: Depth=1
	v_mul_lo_u32 v6, v2, s11
	v_mul_lo_u32 v7, v3, s11
	v_add_u32_e32 v6, s30, v6
	v_add_u32_e32 v8, s30, v7
	v_ashrrev_i32_e32 v7, 31, v6
	v_ashrrev_i32_e32 v9, 31, v8
	v_lshl_add_u64 v[6:7], v[6:7], 2, s[24:25]
	v_lshl_add_u64 v[8:9], v[8:9], 2, s[24:25]
	flat_load_dword v10, v[6:7]
	flat_load_dword v11, v[8:9]
	v_add_u32_e32 v1, -1, v1
	v_cmp_eq_u32_e32 vcc, 0, v1
	v_add_u32_e32 v3, 0x800, v3
	v_add_u32_e32 v2, 0x800, v2
	s_or_b64 s[28:29], vcc, s[28:29]
	s_waitcnt vmcnt(0) lgkmcnt(0)
	ds_write2st64_b32 v5, v10, v11 offset1:16
	v_add_u32_e32 v5, 0x2000, v5
	s_andn2_b64 exec, exec, s[28:29]
	s_cbranch_execnz .LBB19_11
.LBB19_12:
	s_or_b64 exec, exec, s[8:9]
	v_add_u32_e32 v2, 1, v4
	v_and_b32_e32 v3, 0x7ffffe, v2
	v_cmp_ne_u32_e32 vcc, v2, v3
	v_lshl_or_b32 v1, v3, 10, v0
	s_orn2_b64 s[8:9], vcc, exec
.LBB19_13:
	s_or_b64 exec, exec, s[6:7]
	v_mov_b32_e32 v4, s31
	s_and_b64 s[6:7], s[8:9], exec
	s_andn2_saveexec_b64 s[8:9], s[26:27]
	s_cbranch_execz .LBB19_3
.LBB19_14:
	s_lshl_b32 s26, s11, 10
	v_mov_b32_e32 v4, s26
	s_or_b64 s[6:7], s[6:7], exec
	v_mov_b32_e32 v1, v0
	s_or_b64 exec, exec, s[8:9]
	s_and_b64 exec, exec, s[6:7]
	s_cbranch_execz .LBB19_17
.LBB19_15:
	v_mul_lo_u32 v2, v1, s11
	v_add_u32_e32 v2, s30, v2
	v_lshlrev_b32_e32 v5, 2, v1
	s_mov_b64 s[6:7], 0
.LBB19_16:                              ; =>This Inner Loop Header: Depth=1
	v_ashrrev_i32_e32 v3, 31, v2
	v_lshl_add_u64 v[6:7], v[2:3], 2, s[24:25]
	flat_load_dword v3, v[6:7]
	v_add_u32_e32 v1, 0x400, v1
	v_cmp_le_i32_e32 vcc, s21, v1
	v_add_u32_e32 v2, v2, v4
	s_or_b64 s[6:7], vcc, s[6:7]
	s_waitcnt vmcnt(0) lgkmcnt(0)
	ds_write_b32 v5, v3
	v_add_u32_e32 v5, 0x1000, v5
	s_andn2_b64 exec, exec, s[6:7]
	s_cbranch_execnz .LBB19_16
.LBB19_17:
	s_or_b64 exec, exec, s[22:23]
	s_cmp_ge_i32 s10, s20
	s_waitcnt lgkmcnt(0)
	s_barrier
	s_cbranch_scc1 .LBB19_37
; %bb.18:
	s_load_dword s11, s[0:1], 0x48
	s_lshl_b64 s[0:1], s[18:19], 2
	s_add_u32 s22, s16, s0
	s_addc_u32 s23, s17, s1
	s_mul_i32 s0, s14, s3
	s_mul_hi_u32 s1, s14, s2
	s_add_i32 s0, s1, s0
	s_mul_i32 s1, s15, s2
	s_add_i32 s1, s0, s1
	s_mul_i32 s0, s14, s2
	s_lshl_b64 s[0:1], s[0:1], 2
	s_add_u32 s6, s12, s0
	s_addc_u32 s7, s13, s1
	v_mbcnt_lo_u32_b32 v2, -1, 0
	s_cmp_gt_i32 s21, 1
	v_and_b32_e32 v1, 63, v0
	v_mbcnt_hi_u32_b32 v14, -1, v2
	v_mov_b32_e32 v2, 0x80
	s_cselect_b64 s[8:9], -1, 0
	v_cmp_eq_u32_e64 s[0:1], 0, v1
	v_lshrrev_b32_e32 v1, 4, v0
	v_cmp_eq_u32_e64 s[2:3], 0, v0
	v_lshlrev_b32_e32 v4, 2, v0
	s_waitcnt lgkmcnt(0)
	v_mul_lo_u32 v5, v0, s11
	s_lshl_b32 s24, s11, 10
	v_mov_b32_e32 v6, 0x2004
	v_mov_b32_e32 v7, 0x200c
	;; [unrolled: 1-line block ×8, first 2 shown]
	v_and_b32_e32 v15, 63, v14
	v_lshl_or_b32 v16, v14, 2, v2
	s_branch .LBB19_20
.LBB19_19:                              ;   in Loop: Header=BB19_20 Depth=1
	s_or_b64 exec, exec, s[14:15]
	s_add_i32 s10, s10, 64
	s_cmp_ge_i32 s10, s20
	s_cbranch_scc1 .LBB19_37
.LBB19_20:                              ; =>This Loop Header: Depth=1
                                        ;     Child Loop BB19_22 Depth 2
                                        ;     Child Loop BB19_36 Depth 2
	s_ashr_i32 s11, s10, 31
	s_lshl_b64 s[12:13], s[10:11], 2
	s_add_u32 s12, s22, s12
	s_addc_u32 s13, s23, s13
	v_mov_b32_e32 v17, 0
	s_and_saveexec_b64 s[14:15], s[4:5]
	s_cbranch_execz .LBB19_24
; %bb.21:                               ;   in Loop: Header=BB19_20 Depth=1
	v_mov_b32_e32 v17, 0
	s_mov_b64 s[16:17], 0
	v_mov_b32_e32 v2, v5
	v_mov_b32_e32 v18, v4
	;; [unrolled: 1-line block ×3, first 2 shown]
.LBB19_22:                              ;   Parent Loop BB19_20 Depth=1
                                        ; =>  This Inner Loop Header: Depth=2
	v_ashrrev_i32_e32 v3, 31, v2
	v_lshl_add_u64 v[20:21], v[2:3], 2, s[12:13]
	flat_load_dword v3, v[20:21]
	ds_read_b32 v20, v18
	v_add_u32_e32 v19, 0x400, v19
	v_cmp_le_i32_e32 vcc, s21, v19
	v_add_u32_e32 v18, 0x1000, v18
	v_add_u32_e32 v2, s24, v2
	s_or_b64 s[16:17], vcc, s[16:17]
	s_waitcnt vmcnt(0) lgkmcnt(0)
	v_fmac_f32_e32 v17, v20, v3
	s_andn2_b64 exec, exec, s[16:17]
	s_cbranch_execnz .LBB19_22
; %bb.23:                               ;   in Loop: Header=BB19_20 Depth=1
	s_or_b64 exec, exec, s[16:17]
.LBB19_24:                              ;   in Loop: Header=BB19_20 Depth=1
	s_or_b64 exec, exec, s[14:15]
	s_and_b64 vcc, exec, s[8:9]
	s_cbranch_vccz .LBB19_31
; %bb.25:                               ;   in Loop: Header=BB19_20 Depth=1
	v_cmp_ne_u32_e32 vcc, 63, v15
	s_nop 1
	v_addc_co_u32_e32 v2, vcc, 0, v14, vcc
	v_lshlrev_b32_e32 v2, 2, v2
	ds_bpermute_b32 v2, v2, v17
	v_cmp_gt_u32_e32 vcc, 62, v15
	s_waitcnt lgkmcnt(0)
	v_add_f32_e32 v2, v17, v2
	v_cndmask_b32_e64 v3, 0, 2, vcc
	v_add_lshl_u32 v3, v3, v14, 2
	ds_bpermute_b32 v3, v3, v2
	v_cmp_gt_u32_e32 vcc, 60, v15
	s_waitcnt lgkmcnt(0)
	v_add_f32_e32 v2, v2, v3
	v_cndmask_b32_e64 v18, 0, 4, vcc
	v_add_lshl_u32 v18, v18, v14, 2
	;; [unrolled: 6-line block ×4, first 2 shown]
	ds_bpermute_b32 v3, v3, v2
	s_waitcnt lgkmcnt(0)
	v_add_f32_e32 v2, v2, v3
	ds_bpermute_b32 v3, v16, v2
	s_waitcnt lgkmcnt(0)
	v_add_f32_e32 v2, v2, v3
	s_and_saveexec_b64 s[14:15], s[0:1]
; %bb.26:                               ;   in Loop: Header=BB19_20 Depth=1
	ds_write_b32 v1, v2 offset:8192
; %bb.27:                               ;   in Loop: Header=BB19_20 Depth=1
	s_or_b64 exec, exec, s[14:15]
	s_mov_b64 s[16:17], 0
	s_mov_b64 s[14:15], 0
	s_waitcnt lgkmcnt(0)
	s_barrier
                                        ; implicit-def: $vgpr3
	s_and_saveexec_b64 s[18:19], s[2:3]
	s_xor_b64 s[18:19], exec, s[18:19]
	s_cbranch_execz .LBB19_29
; %bb.28:                               ;   in Loop: Header=BB19_20 Depth=1
	ds_read2_b32 v[18:19], v6 offset1:1
	ds_read2_b32 v[20:21], v7 offset1:1
	;; [unrolled: 1-line block ×4, first 2 shown]
	s_mov_b64 s[14:15], exec
	s_waitcnt lgkmcnt(0)
	v_add_f32_e32 v2, v2, v18
	v_add_f32_e32 v2, v2, v19
	s_waitcnt lgkmcnt(2)
	v_add_f32_e32 v2, v2, v20
	v_add_f32_e32 v2, v2, v21
	;; [unrolled: 3-line block ×3, first 2 shown]
	s_waitcnt lgkmcnt(0)
	v_add_f32_e32 v18, v2, v24
	ds_read2_b32 v[2:3], v10 offset1:1
	v_add_f32_e32 v22, v18, v25
	ds_read2_b32 v[18:19], v11 offset1:1
	ds_read2_b32 v[20:21], v12 offset1:1
	ds_read_b32 v23, v13 offset:8252
	s_waitcnt lgkmcnt(0)
	v_add_f32_e32 v2, v22, v2
	v_add_f32_e32 v2, v2, v3
	s_waitcnt lgkmcnt(2)
	v_add_f32_e32 v2, v2, v18
	v_add_f32_e32 v2, v2, v19
	;; [unrolled: 3-line block ×3, first 2 shown]
	s_waitcnt lgkmcnt(0)
	v_add_f32_e32 v3, v2, v23
.LBB19_29:                              ;   in Loop: Header=BB19_20 Depth=1
	s_or_b64 exec, exec, s[18:19]
	s_and_b64 vcc, exec, s[16:17]
	s_cbranch_vccnz .LBB19_32
.LBB19_30:                              ;   in Loop: Header=BB19_20 Depth=1
	v_mov_b32_e32 v17, v3
	s_and_saveexec_b64 s[16:17], s[14:15]
	s_cbranch_execnz .LBB19_33
	s_branch .LBB19_34
.LBB19_31:                              ;   in Loop: Header=BB19_20 Depth=1
	s_mov_b64 s[14:15], 0
                                        ; implicit-def: $vgpr3
	s_cbranch_execz .LBB19_30
.LBB19_32:                              ;   in Loop: Header=BB19_20 Depth=1
	s_andn2_b64 s[14:15], s[14:15], exec
	s_and_b64 s[16:17], s[2:3], exec
	s_or_b64 s[14:15], s[14:15], s[16:17]
	s_and_saveexec_b64 s[16:17], s[14:15]
.LBB19_33:                              ;   in Loop: Header=BB19_20 Depth=1
	ds_write_b32 v13, v17 offset:8192
.LBB19_34:                              ;   in Loop: Header=BB19_20 Depth=1
	s_or_b64 exec, exec, s[16:17]
	s_waitcnt lgkmcnt(0)
	s_barrier
	s_and_saveexec_b64 s[14:15], s[4:5]
	s_cbranch_execz .LBB19_19
; %bb.35:                               ;   in Loop: Header=BB19_20 Depth=1
	global_load_dword v3, v13, s[6:7]
	ds_read_b32 v18, v13 offset:8192
	s_mov_b64 s[16:17], 0
	v_mov_b32_e32 v17, v4
	v_mov_b32_e32 v2, v5
	;; [unrolled: 1-line block ×3, first 2 shown]
	s_waitcnt vmcnt(0) lgkmcnt(0)
	v_mul_f32_e64 v18, v18, -v3
.LBB19_36:                              ;   Parent Loop BB19_20 Depth=1
                                        ; =>  This Inner Loop Header: Depth=2
	v_ashrrev_i32_e32 v3, 31, v2
	v_lshl_add_u64 v[20:21], v[2:3], 2, s[12:13]
	flat_load_dword v3, v[20:21]
	ds_read_b32 v22, v17
	v_add_u32_e32 v19, 0x400, v19
	v_cmp_le_i32_e32 vcc, s21, v19
	v_add_u32_e32 v17, 0x1000, v17
	v_add_u32_e32 v2, s24, v2
	s_or_b64 s[16:17], vcc, s[16:17]
	s_waitcnt vmcnt(0) lgkmcnt(0)
	v_fmac_f32_e32 v3, v18, v22
	flat_store_dword v[20:21], v3
	s_andn2_b64 exec, exec, s[16:17]
	s_cbranch_execnz .LBB19_36
	s_branch .LBB19_19
.LBB19_37:
	s_endpgm
	.section	.rodata,"a",@progbits
	.p2align	6, 0x0
	.amdhsa_kernel _ZN9rocsolver6v33100L23larf_right_kernel_smallILi1024EfiPKPfEEvT1_S5_T2_lS5_lPKT0_lS6_lS5_l
		.amdhsa_group_segment_fixed_size 8256
		.amdhsa_private_segment_fixed_size 0
		.amdhsa_kernarg_size 88
		.amdhsa_user_sgpr_count 2
		.amdhsa_user_sgpr_dispatch_ptr 0
		.amdhsa_user_sgpr_queue_ptr 0
		.amdhsa_user_sgpr_kernarg_segment_ptr 1
		.amdhsa_user_sgpr_dispatch_id 0
		.amdhsa_user_sgpr_kernarg_preload_length 0
		.amdhsa_user_sgpr_kernarg_preload_offset 0
		.amdhsa_user_sgpr_private_segment_size 0
		.amdhsa_uses_dynamic_stack 0
		.amdhsa_enable_private_segment 0
		.amdhsa_system_sgpr_workgroup_id_x 1
		.amdhsa_system_sgpr_workgroup_id_y 1
		.amdhsa_system_sgpr_workgroup_id_z 0
		.amdhsa_system_sgpr_workgroup_info 0
		.amdhsa_system_vgpr_workitem_id 0
		.amdhsa_next_free_vgpr 26
		.amdhsa_next_free_sgpr 34
		.amdhsa_accum_offset 28
		.amdhsa_reserve_vcc 1
		.amdhsa_float_round_mode_32 0
		.amdhsa_float_round_mode_16_64 0
		.amdhsa_float_denorm_mode_32 3
		.amdhsa_float_denorm_mode_16_64 3
		.amdhsa_dx10_clamp 1
		.amdhsa_ieee_mode 1
		.amdhsa_fp16_overflow 0
		.amdhsa_tg_split 0
		.amdhsa_exception_fp_ieee_invalid_op 0
		.amdhsa_exception_fp_denorm_src 0
		.amdhsa_exception_fp_ieee_div_zero 0
		.amdhsa_exception_fp_ieee_overflow 0
		.amdhsa_exception_fp_ieee_underflow 0
		.amdhsa_exception_fp_ieee_inexact 0
		.amdhsa_exception_int_div_zero 0
	.end_amdhsa_kernel
	.section	.text._ZN9rocsolver6v33100L23larf_right_kernel_smallILi1024EfiPKPfEEvT1_S5_T2_lS5_lPKT0_lS6_lS5_l,"axG",@progbits,_ZN9rocsolver6v33100L23larf_right_kernel_smallILi1024EfiPKPfEEvT1_S5_T2_lS5_lPKT0_lS6_lS5_l,comdat
.Lfunc_end19:
	.size	_ZN9rocsolver6v33100L23larf_right_kernel_smallILi1024EfiPKPfEEvT1_S5_T2_lS5_lPKT0_lS6_lS5_l, .Lfunc_end19-_ZN9rocsolver6v33100L23larf_right_kernel_smallILi1024EfiPKPfEEvT1_S5_T2_lS5_lPKT0_lS6_lS5_l
                                        ; -- End function
	.set _ZN9rocsolver6v33100L23larf_right_kernel_smallILi1024EfiPKPfEEvT1_S5_T2_lS5_lPKT0_lS6_lS5_l.num_vgpr, 26
	.set _ZN9rocsolver6v33100L23larf_right_kernel_smallILi1024EfiPKPfEEvT1_S5_T2_lS5_lPKT0_lS6_lS5_l.num_agpr, 0
	.set _ZN9rocsolver6v33100L23larf_right_kernel_smallILi1024EfiPKPfEEvT1_S5_T2_lS5_lPKT0_lS6_lS5_l.numbered_sgpr, 34
	.set _ZN9rocsolver6v33100L23larf_right_kernel_smallILi1024EfiPKPfEEvT1_S5_T2_lS5_lPKT0_lS6_lS5_l.num_named_barrier, 0
	.set _ZN9rocsolver6v33100L23larf_right_kernel_smallILi1024EfiPKPfEEvT1_S5_T2_lS5_lPKT0_lS6_lS5_l.private_seg_size, 0
	.set _ZN9rocsolver6v33100L23larf_right_kernel_smallILi1024EfiPKPfEEvT1_S5_T2_lS5_lPKT0_lS6_lS5_l.uses_vcc, 1
	.set _ZN9rocsolver6v33100L23larf_right_kernel_smallILi1024EfiPKPfEEvT1_S5_T2_lS5_lPKT0_lS6_lS5_l.uses_flat_scratch, 0
	.set _ZN9rocsolver6v33100L23larf_right_kernel_smallILi1024EfiPKPfEEvT1_S5_T2_lS5_lPKT0_lS6_lS5_l.has_dyn_sized_stack, 0
	.set _ZN9rocsolver6v33100L23larf_right_kernel_smallILi1024EfiPKPfEEvT1_S5_T2_lS5_lPKT0_lS6_lS5_l.has_recursion, 0
	.set _ZN9rocsolver6v33100L23larf_right_kernel_smallILi1024EfiPKPfEEvT1_S5_T2_lS5_lPKT0_lS6_lS5_l.has_indirect_call, 0
	.section	.AMDGPU.csdata,"",@progbits
; Kernel info:
; codeLenInByte = 2116
; TotalNumSgprs: 40
; NumVgprs: 26
; NumAgprs: 0
; TotalNumVgprs: 26
; ScratchSize: 0
; MemoryBound: 0
; FloatMode: 240
; IeeeMode: 1
; LDSByteSize: 8256 bytes/workgroup (compile time only)
; SGPRBlocks: 4
; VGPRBlocks: 3
; NumSGPRsForWavesPerEU: 40
; NumVGPRsForWavesPerEU: 26
; AccumOffset: 28
; Occupancy: 8
; WaveLimiterHint : 1
; COMPUTE_PGM_RSRC2:SCRATCH_EN: 0
; COMPUTE_PGM_RSRC2:USER_SGPR: 2
; COMPUTE_PGM_RSRC2:TRAP_HANDLER: 0
; COMPUTE_PGM_RSRC2:TGID_X_EN: 1
; COMPUTE_PGM_RSRC2:TGID_Y_EN: 1
; COMPUTE_PGM_RSRC2:TGID_Z_EN: 0
; COMPUTE_PGM_RSRC2:TIDIG_COMP_CNT: 0
; COMPUTE_PGM_RSRC3_GFX90A:ACCUM_OFFSET: 6
; COMPUTE_PGM_RSRC3_GFX90A:TG_SPLIT: 0
	.section	.text._ZN9rocsolver6v33100L22larf_left_kernel_smallILi64EflPfEEvT1_S3_T2_lS3_lPKT0_lS4_lS3_l,"axG",@progbits,_ZN9rocsolver6v33100L22larf_left_kernel_smallILi64EflPfEEvT1_S3_T2_lS3_lPKT0_lS4_lS3_l,comdat
	.globl	_ZN9rocsolver6v33100L22larf_left_kernel_smallILi64EflPfEEvT1_S3_T2_lS3_lPKT0_lS4_lS3_l ; -- Begin function _ZN9rocsolver6v33100L22larf_left_kernel_smallILi64EflPfEEvT1_S3_T2_lS3_lPKT0_lS4_lS3_l
	.p2align	8
	.type	_ZN9rocsolver6v33100L22larf_left_kernel_smallILi64EflPfEEvT1_S3_T2_lS3_lPKT0_lS4_lS3_l,@function
_ZN9rocsolver6v33100L22larf_left_kernel_smallILi64EflPfEEvT1_S3_T2_lS3_lPKT0_lS4_lS3_l: ; @_ZN9rocsolver6v33100L22larf_left_kernel_smallILi64EflPfEEvT1_S3_T2_lS3_lPKT0_lS4_lS3_l
; %bb.0:
	s_load_dwordx16 s[12:27], s[0:1], 0x0
	s_mov_b32 s10, s3
	s_mov_b64 s[6:7], 0
	s_waitcnt lgkmcnt(0)
	v_cmp_gt_i64_e64 s[4:5], s[20:21], 0
	s_and_b64 vcc, exec, s[4:5]
	s_cbranch_vccnz .LBB20_2
; %bb.1:
	s_sub_u32 s3, 1, s12
	s_subb_u32 s4, 0, s13
	s_mul_i32 s4, s20, s4
	s_mul_hi_u32 s5, s20, s3
	s_add_i32 s4, s5, s4
	s_mul_i32 s5, s21, s3
	s_add_i32 s7, s4, s5
	s_mul_i32 s6, s20, s3
.LBB20_2:
	v_mov_b32_e32 v1, 0
	s_mov_b32 s11, 0
	v_cmp_gt_i64_e64 s[8:9], s[12:13], v[0:1]
	v_not_b32_e32 v2, v0
	s_and_saveexec_b64 s[4:5], s[8:9]
	s_cbranch_execz .LBB20_10
; %bb.3:
	v_mov_b32_e32 v3, -1
	s_mul_i32 s3, s23, s2
	s_mul_hi_u32 s23, s22, s2
	v_lshl_add_u64 v[4:5], s[12:13], 0, v[2:3]
	s_add_i32 s23, s23, s3
	s_mul_i32 s22, s22, s2
	v_cmp_lt_u64_e32 vcc, 63, v[4:5]
	s_mov_b64 s[30:31], -1
	v_mov_b64_e32 v[8:9], v[0:1]
	s_and_saveexec_b64 s[28:29], vcc
	s_cbranch_execz .LBB20_7
; %bb.4:
	s_lshl_b64 s[30:31], s[22:23], 2
	s_add_u32 s3, s16, s30
	s_addc_u32 s33, s17, s31
	s_lshl_b64 s[30:31], s[18:19], 2
	s_add_u32 s3, s3, s30
	v_lshrrev_b64 v[4:5], 6, v[4:5]
	s_addc_u32 s33, s33, s31
	s_lshl_b64 s[30:31], s[6:7], 2
	v_lshl_add_u64 v[4:5], v[4:5], 0, 1
	s_add_u32 s30, s3, s30
	v_and_b32_e32 v6, -2, v4
	v_mov_b32_e32 v7, v5
	v_mov_b32_e32 v11, 0
	s_addc_u32 s31, s33, s31
	s_mov_b32 s3, s20
	s_mov_b32 s33, s21
	v_or_b32_e32 v8, 64, v0
	v_mov_b32_e32 v10, v0
	v_mov_b32_e32 v9, v11
	s_mov_b64 s[34:35], 0
	s_mov_b64 s[36:37], 0x80
	v_mov_b64_e32 v[12:13], v[6:7]
.LBB20_5:                               ; =>This Inner Loop Header: Depth=1
	v_mul_lo_u32 v19, v11, s20
	v_mul_lo_u32 v20, v10, s21
	v_mad_u64_u32 v[16:17], s[38:39], v10, s20, 0
	v_mul_lo_u32 v3, v9, s3
	v_mul_lo_u32 v18, v8, s33
	v_mad_u64_u32 v[14:15], s[38:39], v8, s3, 0
	v_add3_u32 v17, v17, v20, v19
	v_add3_u32 v15, v15, v18, v3
	v_lshl_add_u64 v[16:17], v[16:17], 2, s[30:31]
	v_lshl_add_u64 v[14:15], v[14:15], 2, s[30:31]
	global_load_dword v3, v[16:17], off
	global_load_dword v18, v[14:15], off
	v_lshl_add_u64 v[12:13], v[12:13], 0, -2
	v_cmp_eq_u64_e32 vcc, 0, v[12:13]
	v_lshlrev_b32_e32 v14, 2, v10
	v_lshlrev_b32_e32 v15, 2, v8
	v_lshl_add_u64 v[8:9], v[8:9], 0, s[36:37]
	v_lshl_add_u64 v[10:11], v[10:11], 0, s[36:37]
	s_or_b64 s[34:35], vcc, s[34:35]
	s_waitcnt vmcnt(1)
	ds_write_b32 v14, v3
	s_waitcnt vmcnt(0)
	ds_write_b32 v15, v18
	s_andn2_b64 exec, exec, s[34:35]
	s_cbranch_execnz .LBB20_5
; %bb.6:
	s_or_b64 exec, exec, s[34:35]
	v_lshlrev_b64 v[8:9], 6, v[6:7]
	v_cmp_ne_u64_e32 vcc, v[4:5], v[6:7]
	v_or_b32_e32 v8, v8, v0
	s_orn2_b64 s[30:31], vcc, exec
.LBB20_7:
	s_or_b64 exec, exec, s[28:29]
	s_and_b64 exec, exec, s[30:31]
	s_cbranch_execz .LBB20_10
; %bb.8:
	s_lshl_b64 s[22:23], s[22:23], 2
	s_lshl_b64 s[6:7], s[6:7], 2
	;; [unrolled: 1-line block ×3, first 2 shown]
	s_add_u32 s3, s16, s18
	s_addc_u32 s16, s17, s19
	s_add_u32 s3, s3, s6
	s_addc_u32 s7, s16, s7
	v_mul_lo_u32 v3, v9, s20
	v_mul_lo_u32 v6, v8, s21
	v_mad_u64_u32 v[4:5], s[28:29], v8, s20, 0
	s_add_u32 s6, s3, s22
	v_add3_u32 v5, v5, v6, v3
	s_addc_u32 s7, s7, s23
	v_lshl_add_u64 v[4:5], v[4:5], 2, s[6:7]
	s_lshl_b64 s[6:7], s[20:21], 8
	v_lshlrev_b32_e32 v3, 2, v8
	s_mov_b64 s[16:17], 0
.LBB20_9:                               ; =>This Inner Loop Header: Depth=1
	global_load_dword v6, v[4:5], off
	v_lshl_add_u64 v[8:9], v[8:9], 0, 64
	v_cmp_le_i64_e32 vcc, s[12:13], v[8:9]
	v_lshl_add_u64 v[4:5], v[4:5], 0, s[6:7]
	s_or_b64 s[16:17], vcc, s[16:17]
	s_waitcnt vmcnt(0)
	ds_write_b32 v3, v6
	v_add_u32_e32 v3, 0x100, v3
	s_andn2_b64 exec, exec, s[16:17]
	s_cbranch_execnz .LBB20_9
.LBB20_10:
	s_or_b64 exec, exec, s[4:5]
	v_mov_b64_e32 v[4:5], s[10:11]
	v_cmp_le_i64_e32 vcc, s[14:15], v[4:5]
	s_waitcnt lgkmcnt(0)
	; wave barrier
	s_cbranch_vccnz .LBB20_37
; %bb.11:
	s_load_dwordx8 s[16:23], s[0:1], 0x40
	s_mul_i32 s0, s27, s2
	s_mul_hi_u32 s1, s26, s2
	s_add_i32 s1, s1, s0
	s_mul_i32 s0, s26, s2
	s_waitcnt lgkmcnt(0)
	s_mul_i32 s3, s23, s2
	s_mul_hi_u32 s4, s22, s2
	s_add_i32 s29, s4, s3
	s_lshl_b64 s[0:1], s[0:1], 2
	s_add_u32 s0, s24, s0
	s_addc_u32 s1, s25, s1
	s_cmp_gt_i32 s12, 1
	s_mul_i32 s4, s21, s10
	s_mul_hi_u32 s5, s20, s10
	s_mul_i32 s28, s22, s2
	s_cselect_b64 s[22:23], -1, 0
	s_add_i32 s31, s5, s4
	s_mul_i32 s30, s20, s10
	s_add_u32 s4, s28, s30
	s_addc_u32 s5, s29, s31
	s_add_u32 s4, s4, s18
	s_addc_u32 s5, s5, s19
	s_lshl_b64 s[20:21], s[20:21], 8
	s_lshl_b64 s[28:29], s[28:29], 2
	;; [unrolled: 1-line block ×3, first 2 shown]
	v_mov_b32_e32 v3, -1
	s_add_u32 s28, s28, s30
	v_lshl_add_u64 v[2:3], s[12:13], 0, v[2:3]
	s_addc_u32 s29, s29, s31
	s_lshl_b64 s[18:19], s[18:19], 2
	v_lshl_add_u64 v[4:5], s[4:5], 0, v[0:1]
	v_lshrrev_b64 v[6:7], 6, v[2:3]
	s_mov_b64 s[4:5], 0xc0
	s_mov_b32 s6, -1
	s_add_u32 s18, s28, s18
	v_lshl_add_u64 v[6:7], v[6:7], 0, 1
	v_cmp_gt_u64_e64 s[26:27], s[4:5], v[2:3]
	s_mov_b64 s[4:5], 0xbf
	s_brev_b32 s7, -4
	s_addc_u32 s19, s29, s19
	v_lshl_add_u64 v[10:11], v[4:5], 2, s[16:17]
	v_cmp_lt_u64_e64 s[4:5], s[4:5], v[2:3]
	v_lshlrev_b64 v[12:13], 2, v[2:3]
	v_cmp_lt_u64_e32 vcc, s[6:7], v[2:3]
	v_and_b32_e32 v14, -2, v6
	v_mov_b32_e32 v15, v7
	v_mov_b32_e32 v3, 0
	s_add_u32 s16, s16, s18
	v_lshlrev_b64 v[16:17], 6, v[14:15]
	v_cmp_ne_u64_e64 s[6:7], v[6:7], v[14:15]
	v_lshlrev_b32_e32 v18, 2, v0
	v_mov_b32_e32 v19, v3
	s_addc_u32 s17, s17, s19
	v_mbcnt_lo_u32_b32 v6, -1, 0
	v_or_b32_e32 v16, v16, v0
	v_lshl_add_u64 v[20:21], s[16:17], 0, v[18:19]
	s_mov_b64 s[18:19], 0x100
	v_mbcnt_hi_u32_b32 v36, -1, v6
	v_mov_b32_e32 v6, 0x80
	v_cmp_gt_i32_e64 s[2:3], s12, v0
	v_cmp_eq_u32_e64 s[24:25], 0, v0
	v_lshrrev_b32_e32 v34, 4, v0
	v_and_b32_e32 v12, 0xffffff00, v12
	v_or_b32_e32 v4, 64, v0
	v_mov_b32_e32 v2, v0
	v_mov_b32_e32 v5, v3
	v_lshlrev_b32_e32 v35, 2, v0
	v_lshl_add_u64 v[22:23], v[20:21], 0, s[18:19]
	s_mov_b64 s[28:29], 0
	s_mov_b64 s[30:31], 0x80
	;; [unrolled: 1-line block ×3, first 2 shown]
	v_lshlrev_b64 v[24:25], 2, v[16:17]
	v_mov_b64_e32 v[26:27], s[14:15]
	v_and_b32_e32 v37, 63, v36
	v_lshl_or_b32 v38, v36, 2, v6
	s_xor_b64 s[14:15], vcc, -1
	s_branch .LBB20_13
.LBB20_12:                              ;   in Loop: Header=BB20_13 Depth=1
	s_or_b64 exec, exec, s[36:37]
	s_add_u32 s10, s10, 64
	s_addc_u32 s11, s11, 0
	s_add_u32 s28, s28, 1
	s_addc_u32 s29, s29, 0
	s_add_u32 s16, s16, s20
	v_cmp_ge_i64_e32 vcc, s[10:11], v[26:27]
	v_lshl_add_u64 v[20:21], v[20:21], 0, s[20:21]
	v_lshl_add_u64 v[22:23], v[22:23], 0, s[20:21]
	s_addc_u32 s17, s17, s21
	s_cbranch_vccnz .LBB20_37
.LBB20_13:                              ; =>This Loop Header: Depth=1
                                        ;     Child Loop BB20_15 Depth 2
                                        ;     Child Loop BB20_29 Depth 2
	;; [unrolled: 1-line block ×3, first 2 shown]
	v_mov_b32_e32 v8, 0
	s_and_saveexec_b64 s[36:37], s[2:3]
	s_cbranch_execz .LBB20_17
; %bb.14:                               ;   in Loop: Header=BB20_13 Depth=1
	v_mov_b32_e32 v8, 0
	s_mov_b64 s[38:39], 0
	v_mov_b64_e32 v[6:7], v[20:21]
	v_mov_b32_e32 v9, v35
	v_mov_b32_e32 v28, v0
.LBB20_15:                              ;   Parent Loop BB20_13 Depth=1
                                        ; =>  This Inner Loop Header: Depth=2
	global_load_dword v29, v[6:7], off
	ds_read_b32 v30, v9
	v_add_u32_e32 v28, 64, v28
	v_cmp_le_i32_e32 vcc, s12, v28
	v_add_u32_e32 v9, 0x100, v9
	v_lshl_add_u64 v[6:7], v[6:7], 0, s[18:19]
	s_or_b64 s[38:39], vcc, s[38:39]
	s_waitcnt vmcnt(0) lgkmcnt(0)
	v_fmac_f32_e32 v8, v30, v29
	s_andn2_b64 exec, exec, s[38:39]
	s_cbranch_execnz .LBB20_15
; %bb.16:                               ;   in Loop: Header=BB20_13 Depth=1
	s_or_b64 exec, exec, s[38:39]
.LBB20_17:                              ;   in Loop: Header=BB20_13 Depth=1
	s_or_b64 exec, exec, s[36:37]
	s_and_b64 vcc, exec, s[22:23]
	s_cbranch_vccz .LBB20_22
; %bb.18:                               ;   in Loop: Header=BB20_13 Depth=1
	v_cmp_ne_u32_e32 vcc, 63, v37
	s_nop 1
	v_addc_co_u32_e32 v6, vcc, 0, v36, vcc
	v_lshlrev_b32_e32 v6, 2, v6
	ds_bpermute_b32 v6, v6, v8
	v_cmp_gt_u32_e32 vcc, 62, v37
	s_waitcnt lgkmcnt(0)
	v_add_f32_e32 v6, v8, v6
	v_cndmask_b32_e64 v7, 0, 2, vcc
	v_add_lshl_u32 v7, v7, v36, 2
	ds_bpermute_b32 v7, v7, v6
	v_cmp_gt_u32_e32 vcc, 60, v37
	s_waitcnt lgkmcnt(0)
	v_add_f32_e32 v6, v6, v7
	v_cndmask_b32_e64 v9, 0, 4, vcc
	v_add_lshl_u32 v9, v9, v36, 2
	;; [unrolled: 6-line block ×4, first 2 shown]
	ds_bpermute_b32 v7, v7, v6
	s_waitcnt lgkmcnt(0)
	v_add_f32_e32 v6, v6, v7
	ds_bpermute_b32 v7, v38, v6
	s_waitcnt lgkmcnt(0)
	v_add_f32_e32 v6, v6, v7
	s_and_saveexec_b64 s[36:37], s[24:25]
; %bb.19:                               ;   in Loop: Header=BB20_13 Depth=1
	ds_write_b32 v34, v6 offset:8192
; %bb.20:                               ;   in Loop: Header=BB20_13 Depth=1
	s_or_b64 exec, exec, s[36:37]
	s_waitcnt lgkmcnt(0)
	; wave barrier
	s_mov_b64 s[36:37], s[24:25]
.LBB20_21:                              ;   in Loop: Header=BB20_13 Depth=1
	v_mov_b32_e32 v8, v6
	s_and_saveexec_b64 s[38:39], s[36:37]
	s_cbranch_execnz .LBB20_24
	s_branch .LBB20_25
.LBB20_22:                              ;   in Loop: Header=BB20_13 Depth=1
	s_mov_b64 s[36:37], 0
                                        ; implicit-def: $vgpr6
	s_cbranch_execz .LBB20_21
; %bb.23:                               ;   in Loop: Header=BB20_13 Depth=1
	s_andn2_b64 s[36:37], s[36:37], exec
	s_and_b64 s[38:39], s[24:25], exec
	s_or_b64 s[36:37], s[36:37], s[38:39]
	s_and_saveexec_b64 s[38:39], s[36:37]
.LBB20_24:                              ;   in Loop: Header=BB20_13 Depth=1
	ds_write_b32 v3, v8 offset:8192
.LBB20_25:                              ;   in Loop: Header=BB20_13 Depth=1
	s_or_b64 exec, exec, s[38:39]
	s_waitcnt lgkmcnt(0)
	; wave barrier
	s_and_saveexec_b64 s[36:37], s[8:9]
	s_cbranch_execz .LBB20_12
; %bb.26:                               ;   in Loop: Header=BB20_13 Depth=1
	global_load_dword v8, v3, s[0:1]
	ds_read_b32 v9, v3 offset:8192
	s_mov_b64 s[40:41], s[26:27]
	v_mov_b64_e32 v[6:7], v[0:1]
	s_waitcnt vmcnt(0) lgkmcnt(0)
	v_mul_f32_e64 v28, v9, -v8
	v_mov_b64_e32 v[8:9], v[18:19]
	s_and_saveexec_b64 s[38:39], s[4:5]
	s_cbranch_execz .LBB20_34
; %bb.27:                               ;   in Loop: Header=BB20_13 Depth=1
	s_mul_i32 s33, s21, s28
	s_mul_i32 s40, s20, s29
	v_mov_b32_e32 v6, s28
	s_add_i32 s33, s40, s33
	v_mad_u64_u32 v[6:7], s[40:41], s20, v6, v[10:11]
	v_add_u32_e32 v7, s33, v7
	v_lshl_add_u64 v[8:9], v[6:7], 0, v[12:13]
	v_cmp_ge_u64_e32 vcc, v[8:9], v[6:7]
	s_mov_b64 s[42:43], -1
	s_and_b64 s[44:45], vcc, s[14:15]
	v_mov_b64_e32 v[6:7], v[0:1]
	v_mov_b64_e32 v[8:9], v[18:19]
	s_and_saveexec_b64 s[40:41], s[44:45]
	s_cbranch_execz .LBB20_33
; %bb.28:                               ;   in Loop: Header=BB20_13 Depth=1
	v_mov_b64_e32 v[8:9], v[4:5]
	v_mov_b32_e32 v29, v28
	s_mov_b64 s[42:43], 0
	v_mov_b64_e32 v[30:31], v[14:15]
	v_mov_b64_e32 v[32:33], v[22:23]
	;; [unrolled: 1-line block ×3, first 2 shown]
.LBB20_29:                              ;   Parent Loop BB20_13 Depth=1
                                        ; =>  This Inner Loop Header: Depth=2
	global_load_dword v40, v[32:33], off offset:-256
	global_load_dword v41, v[32:33], off
	v_lshlrev_b32_e32 v39, 2, v6
	v_lshlrev_b32_e32 v43, 2, v8
	ds_read_b32 v42, v39
	ds_read_b32 v43, v43
	v_lshl_add_u64 v[30:31], v[30:31], 0, -2
	v_cmp_eq_u64_e32 vcc, 0, v[30:31]
	v_lshl_add_u64 v[8:9], v[8:9], 0, s[30:31]
	v_lshl_add_u64 v[6:7], v[6:7], 0, s[30:31]
	s_or_b64 s[42:43], vcc, s[42:43]
	s_waitcnt vmcnt(0) lgkmcnt(0)
	v_pk_fma_f32 v[40:41], v[28:29], v[42:43], v[40:41]
	global_store_dword v[32:33], v40, off offset:-256
	global_store_dword v[32:33], v41, off
	v_lshl_add_u64 v[32:33], v[32:33], 0, s[34:35]
	s_andn2_b64 exec, exec, s[42:43]
	s_cbranch_execnz .LBB20_29
; %bb.30:                               ;   in Loop: Header=BB20_13 Depth=1
	s_or_b64 exec, exec, s[42:43]
	s_mov_b64 s[42:43], 0
	s_and_saveexec_b64 s[44:45], s[6:7]
; %bb.31:                               ;   in Loop: Header=BB20_13 Depth=1
	s_mov_b64 s[42:43], exec
; %bb.32:                               ;   in Loop: Header=BB20_13 Depth=1
	s_or_b64 exec, exec, s[44:45]
	s_orn2_b64 s[42:43], s[42:43], exec
	v_mov_b64_e32 v[6:7], v[16:17]
	v_mov_b64_e32 v[8:9], v[24:25]
.LBB20_33:                              ;   in Loop: Header=BB20_13 Depth=1
	s_or_b64 exec, exec, s[40:41]
	s_andn2_b64 s[40:41], s[26:27], exec
	s_and_b64 s[42:43], s[42:43], exec
	s_or_b64 s[40:41], s[40:41], s[42:43]
.LBB20_34:                              ;   in Loop: Header=BB20_13 Depth=1
	s_or_b64 exec, exec, s[38:39]
	s_and_b64 exec, exec, s[40:41]
	s_cbranch_execz .LBB20_12
; %bb.35:                               ;   in Loop: Header=BB20_13 Depth=1
	v_lshlrev_b32_e32 v29, 2, v6
	v_lshl_add_u64 v[8:9], s[16:17], 0, v[8:9]
	s_mov_b64 s[38:39], 0
.LBB20_36:                              ;   Parent Loop BB20_13 Depth=1
                                        ; =>  This Inner Loop Header: Depth=2
	global_load_dword v30, v[8:9], off
	ds_read_b32 v31, v29
	v_lshl_add_u64 v[6:7], v[6:7], 0, 64
	v_cmp_le_i64_e32 vcc, s[12:13], v[6:7]
	v_add_u32_e32 v29, 0x100, v29
	s_or_b64 s[38:39], vcc, s[38:39]
	s_waitcnt vmcnt(0) lgkmcnt(0)
	v_fmac_f32_e32 v30, v28, v31
	global_store_dword v[8:9], v30, off
	v_lshl_add_u64 v[8:9], v[8:9], 0, s[18:19]
	s_andn2_b64 exec, exec, s[38:39]
	s_cbranch_execnz .LBB20_36
	s_branch .LBB20_12
.LBB20_37:
	s_endpgm
	.section	.rodata,"a",@progbits
	.p2align	6, 0x0
	.amdhsa_kernel _ZN9rocsolver6v33100L22larf_left_kernel_smallILi64EflPfEEvT1_S3_T2_lS3_lPKT0_lS4_lS3_l
		.amdhsa_group_segment_fixed_size 8448
		.amdhsa_private_segment_fixed_size 0
		.amdhsa_kernarg_size 96
		.amdhsa_user_sgpr_count 2
		.amdhsa_user_sgpr_dispatch_ptr 0
		.amdhsa_user_sgpr_queue_ptr 0
		.amdhsa_user_sgpr_kernarg_segment_ptr 1
		.amdhsa_user_sgpr_dispatch_id 0
		.amdhsa_user_sgpr_kernarg_preload_length 0
		.amdhsa_user_sgpr_kernarg_preload_offset 0
		.amdhsa_user_sgpr_private_segment_size 0
		.amdhsa_uses_dynamic_stack 0
		.amdhsa_enable_private_segment 0
		.amdhsa_system_sgpr_workgroup_id_x 1
		.amdhsa_system_sgpr_workgroup_id_y 1
		.amdhsa_system_sgpr_workgroup_id_z 0
		.amdhsa_system_sgpr_workgroup_info 0
		.amdhsa_system_vgpr_workitem_id 0
		.amdhsa_next_free_vgpr 81
		.amdhsa_next_free_sgpr 96
		.amdhsa_accum_offset 44
		.amdhsa_reserve_vcc 1
		.amdhsa_float_round_mode_32 0
		.amdhsa_float_round_mode_16_64 0
		.amdhsa_float_denorm_mode_32 3
		.amdhsa_float_denorm_mode_16_64 3
		.amdhsa_dx10_clamp 1
		.amdhsa_ieee_mode 1
		.amdhsa_fp16_overflow 0
		.amdhsa_tg_split 0
		.amdhsa_exception_fp_ieee_invalid_op 0
		.amdhsa_exception_fp_denorm_src 0
		.amdhsa_exception_fp_ieee_div_zero 0
		.amdhsa_exception_fp_ieee_overflow 0
		.amdhsa_exception_fp_ieee_underflow 0
		.amdhsa_exception_fp_ieee_inexact 0
		.amdhsa_exception_int_div_zero 0
	.end_amdhsa_kernel
	.section	.text._ZN9rocsolver6v33100L22larf_left_kernel_smallILi64EflPfEEvT1_S3_T2_lS3_lPKT0_lS4_lS3_l,"axG",@progbits,_ZN9rocsolver6v33100L22larf_left_kernel_smallILi64EflPfEEvT1_S3_T2_lS3_lPKT0_lS4_lS3_l,comdat
.Lfunc_end20:
	.size	_ZN9rocsolver6v33100L22larf_left_kernel_smallILi64EflPfEEvT1_S3_T2_lS3_lPKT0_lS4_lS3_l, .Lfunc_end20-_ZN9rocsolver6v33100L22larf_left_kernel_smallILi64EflPfEEvT1_S3_T2_lS3_lPKT0_lS4_lS3_l
                                        ; -- End function
	.set _ZN9rocsolver6v33100L22larf_left_kernel_smallILi64EflPfEEvT1_S3_T2_lS3_lPKT0_lS4_lS3_l.num_vgpr, 44
	.set _ZN9rocsolver6v33100L22larf_left_kernel_smallILi64EflPfEEvT1_S3_T2_lS3_lPKT0_lS4_lS3_l.num_agpr, 0
	.set _ZN9rocsolver6v33100L22larf_left_kernel_smallILi64EflPfEEvT1_S3_T2_lS3_lPKT0_lS4_lS3_l.numbered_sgpr, 46
	.set _ZN9rocsolver6v33100L22larf_left_kernel_smallILi64EflPfEEvT1_S3_T2_lS3_lPKT0_lS4_lS3_l.num_named_barrier, 0
	.set _ZN9rocsolver6v33100L22larf_left_kernel_smallILi64EflPfEEvT1_S3_T2_lS3_lPKT0_lS4_lS3_l.private_seg_size, 0
	.set _ZN9rocsolver6v33100L22larf_left_kernel_smallILi64EflPfEEvT1_S3_T2_lS3_lPKT0_lS4_lS3_l.uses_vcc, 1
	.set _ZN9rocsolver6v33100L22larf_left_kernel_smallILi64EflPfEEvT1_S3_T2_lS3_lPKT0_lS4_lS3_l.uses_flat_scratch, 0
	.set _ZN9rocsolver6v33100L22larf_left_kernel_smallILi64EflPfEEvT1_S3_T2_lS3_lPKT0_lS4_lS3_l.has_dyn_sized_stack, 0
	.set _ZN9rocsolver6v33100L22larf_left_kernel_smallILi64EflPfEEvT1_S3_T2_lS3_lPKT0_lS4_lS3_l.has_recursion, 0
	.set _ZN9rocsolver6v33100L22larf_left_kernel_smallILi64EflPfEEvT1_S3_T2_lS3_lPKT0_lS4_lS3_l.has_indirect_call, 0
	.section	.AMDGPU.csdata,"",@progbits
; Kernel info:
; codeLenInByte = 1880
; TotalNumSgprs: 52
; NumVgprs: 44
; NumAgprs: 0
; TotalNumVgprs: 44
; ScratchSize: 0
; MemoryBound: 0
; FloatMode: 240
; IeeeMode: 1
; LDSByteSize: 8448 bytes/workgroup (compile time only)
; SGPRBlocks: 12
; VGPRBlocks: 10
; NumSGPRsForWavesPerEU: 102
; NumVGPRsForWavesPerEU: 81
; AccumOffset: 44
; Occupancy: 5
; WaveLimiterHint : 1
; COMPUTE_PGM_RSRC2:SCRATCH_EN: 0
; COMPUTE_PGM_RSRC2:USER_SGPR: 2
; COMPUTE_PGM_RSRC2:TRAP_HANDLER: 0
; COMPUTE_PGM_RSRC2:TGID_X_EN: 1
; COMPUTE_PGM_RSRC2:TGID_Y_EN: 1
; COMPUTE_PGM_RSRC2:TGID_Z_EN: 0
; COMPUTE_PGM_RSRC2:TIDIG_COMP_CNT: 0
; COMPUTE_PGM_RSRC3_GFX90A:ACCUM_OFFSET: 10
; COMPUTE_PGM_RSRC3_GFX90A:TG_SPLIT: 0
	.section	.text._ZN9rocsolver6v33100L22larf_left_kernel_smallILi128EflPfEEvT1_S3_T2_lS3_lPKT0_lS4_lS3_l,"axG",@progbits,_ZN9rocsolver6v33100L22larf_left_kernel_smallILi128EflPfEEvT1_S3_T2_lS3_lPKT0_lS4_lS3_l,comdat
	.globl	_ZN9rocsolver6v33100L22larf_left_kernel_smallILi128EflPfEEvT1_S3_T2_lS3_lPKT0_lS4_lS3_l ; -- Begin function _ZN9rocsolver6v33100L22larf_left_kernel_smallILi128EflPfEEvT1_S3_T2_lS3_lPKT0_lS4_lS3_l
	.p2align	8
	.type	_ZN9rocsolver6v33100L22larf_left_kernel_smallILi128EflPfEEvT1_S3_T2_lS3_lPKT0_lS4_lS3_l,@function
_ZN9rocsolver6v33100L22larf_left_kernel_smallILi128EflPfEEvT1_S3_T2_lS3_lPKT0_lS4_lS3_l: ; @_ZN9rocsolver6v33100L22larf_left_kernel_smallILi128EflPfEEvT1_S3_T2_lS3_lPKT0_lS4_lS3_l
; %bb.0:
	s_load_dwordx16 s[16:31], s[0:1], 0x0
	s_mov_b32 s14, s3
	s_mov_b64 s[6:7], 0
	s_waitcnt lgkmcnt(0)
	v_cmp_gt_i64_e64 s[4:5], s[24:25], 0
	s_and_b64 vcc, exec, s[4:5]
	s_cbranch_vccnz .LBB21_2
; %bb.1:
	s_sub_u32 s3, 1, s16
	s_subb_u32 s4, 0, s17
	s_mul_i32 s4, s24, s4
	s_mul_hi_u32 s5, s24, s3
	s_add_i32 s4, s5, s4
	s_mul_i32 s5, s25, s3
	s_add_i32 s7, s4, s5
	s_mul_i32 s6, s24, s3
.LBB21_2:
	v_mov_b32_e32 v1, 0
	s_mov_b32 s15, 0
	v_cmp_gt_i64_e64 s[12:13], s[16:17], v[0:1]
	v_not_b32_e32 v2, v0
	s_and_saveexec_b64 s[4:5], s[12:13]
	s_cbranch_execz .LBB21_10
; %bb.3:
	v_mov_b32_e32 v3, -1
	s_mul_i32 s3, s27, s2
	s_mul_hi_u32 s8, s26, s2
	v_lshl_add_u64 v[4:5], s[16:17], 0, v[2:3]
	s_mov_b64 s[10:11], 0x7f
	s_add_i32 s9, s8, s3
	s_mul_i32 s8, s26, s2
	v_cmp_lt_u64_e32 vcc, s[10:11], v[4:5]
	s_mov_b64 s[26:27], -1
	v_mov_b64_e32 v[8:9], v[0:1]
	s_and_saveexec_b64 s[10:11], vcc
	s_cbranch_execz .LBB21_7
; %bb.4:
	s_lshl_b64 s[26:27], s[8:9], 2
	s_add_u32 s3, s20, s26
	s_addc_u32 s33, s21, s27
	s_lshl_b64 s[26:27], s[22:23], 2
	s_add_u32 s3, s3, s26
	v_lshrrev_b64 v[4:5], 7, v[4:5]
	s_addc_u32 s33, s33, s27
	s_lshl_b64 s[26:27], s[6:7], 2
	v_lshl_add_u64 v[4:5], v[4:5], 0, 1
	s_add_u32 s26, s3, s26
	v_and_b32_e32 v6, -2, v4
	v_mov_b32_e32 v7, v5
	v_mov_b32_e32 v11, 0
	s_addc_u32 s27, s33, s27
	s_mov_b32 s3, s24
	s_mov_b32 s33, s25
	v_or_b32_e32 v8, 0x80, v0
	v_mov_b32_e32 v10, v0
	v_mov_b32_e32 v9, v11
	s_mov_b64 s[34:35], 0
	s_mov_b64 s[36:37], 0x100
	v_mov_b64_e32 v[12:13], v[6:7]
.LBB21_5:                               ; =>This Inner Loop Header: Depth=1
	v_mul_lo_u32 v19, v11, s24
	v_mul_lo_u32 v20, v10, s25
	v_mad_u64_u32 v[16:17], s[38:39], v10, s24, 0
	v_mul_lo_u32 v3, v9, s3
	v_mul_lo_u32 v18, v8, s33
	v_mad_u64_u32 v[14:15], s[38:39], v8, s3, 0
	v_add3_u32 v17, v17, v20, v19
	v_add3_u32 v15, v15, v18, v3
	v_lshl_add_u64 v[16:17], v[16:17], 2, s[26:27]
	v_lshl_add_u64 v[14:15], v[14:15], 2, s[26:27]
	global_load_dword v3, v[16:17], off
	global_load_dword v18, v[14:15], off
	v_lshl_add_u64 v[12:13], v[12:13], 0, -2
	v_cmp_eq_u64_e32 vcc, 0, v[12:13]
	v_lshlrev_b32_e32 v14, 2, v10
	v_lshlrev_b32_e32 v15, 2, v8
	v_lshl_add_u64 v[8:9], v[8:9], 0, s[36:37]
	v_lshl_add_u64 v[10:11], v[10:11], 0, s[36:37]
	s_or_b64 s[34:35], vcc, s[34:35]
	s_waitcnt vmcnt(1)
	ds_write_b32 v14, v3
	s_waitcnt vmcnt(0)
	ds_write_b32 v15, v18
	s_andn2_b64 exec, exec, s[34:35]
	s_cbranch_execnz .LBB21_5
; %bb.6:
	s_or_b64 exec, exec, s[34:35]
	v_lshlrev_b64 v[8:9], 7, v[6:7]
	v_cmp_ne_u64_e32 vcc, v[4:5], v[6:7]
	v_or_b32_e32 v8, v8, v0
	s_orn2_b64 s[26:27], vcc, exec
.LBB21_7:
	s_or_b64 exec, exec, s[10:11]
	s_and_b64 exec, exec, s[26:27]
	s_cbranch_execz .LBB21_10
; %bb.8:
	v_mad_u64_u32 v[4:5], s[10:11], v8, s24, 0
	s_lshl_b64 s[8:9], s[8:9], 2
	s_lshl_b64 s[6:7], s[6:7], 2
	;; [unrolled: 1-line block ×3, first 2 shown]
	s_add_u32 s3, s20, s10
	s_addc_u32 s10, s21, s11
	s_add_u32 s3, s3, s6
	s_addc_u32 s7, s10, s7
	v_mul_lo_u32 v3, v9, s24
	v_mul_lo_u32 v6, v8, s25
	s_add_u32 s6, s3, s8
	v_add3_u32 v5, v5, v6, v3
	s_addc_u32 s7, s7, s9
	v_lshl_add_u64 v[4:5], v[4:5], 2, s[6:7]
	s_lshl_b64 s[6:7], s[24:25], 9
	v_lshlrev_b32_e32 v3, 2, v8
	s_mov_b64 s[8:9], 0
	s_mov_b64 s[10:11], 0x80
.LBB21_9:                               ; =>This Inner Loop Header: Depth=1
	global_load_dword v6, v[4:5], off
	v_lshl_add_u64 v[8:9], v[8:9], 0, s[10:11]
	v_cmp_le_i64_e32 vcc, s[16:17], v[8:9]
	v_lshl_add_u64 v[4:5], v[4:5], 0, s[6:7]
	s_or_b64 s[8:9], vcc, s[8:9]
	s_waitcnt vmcnt(0)
	ds_write_b32 v3, v6
	v_add_u32_e32 v3, 0x200, v3
	s_andn2_b64 exec, exec, s[8:9]
	s_cbranch_execnz .LBB21_9
.LBB21_10:
	s_or_b64 exec, exec, s[4:5]
	v_mov_b64_e32 v[4:5], s[14:15]
	v_cmp_le_i64_e32 vcc, s[18:19], v[4:5]
	s_waitcnt lgkmcnt(0)
	s_barrier
	s_cbranch_vccnz .LBB21_39
; %bb.11:
	s_load_dwordx8 s[20:27], s[0:1], 0x40
	s_mul_i32 s0, s31, s2
	s_mul_hi_u32 s1, s30, s2
	s_add_i32 s1, s1, s0
	s_mul_i32 s0, s30, s2
	s_waitcnt lgkmcnt(0)
	s_mul_i32 s3, s27, s2
	s_mul_hi_u32 s4, s26, s2
	s_add_i32 s35, s4, s3
	s_lshl_b64 s[0:1], s[0:1], 2
	s_add_u32 s0, s28, s0
	s_addc_u32 s1, s29, s1
	s_cmp_gt_i32 s16, 1
	s_mul_i32 s8, s25, s14
	s_mul_hi_u32 s9, s24, s14
	s_mul_i32 s34, s26, s2
	s_cselect_b64 s[26:27], -1, 0
	s_add_i32 s31, s9, s8
	s_mul_i32 s30, s24, s14
	s_add_u32 s8, s34, s30
	s_addc_u32 s9, s35, s31
	s_add_u32 s8, s8, s22
	v_and_b32_e32 v3, 63, v0
	s_addc_u32 s9, s9, s23
	s_lshl_b64 s[24:25], s[24:25], 8
	s_lshl_b64 s[34:35], s[34:35], 2
	;; [unrolled: 1-line block ×3, first 2 shown]
	v_cmp_eq_u32_e64 s[4:5], 0, v3
	v_mov_b32_e32 v3, -1
	s_add_u32 s30, s34, s30
	v_lshl_add_u64 v[2:3], s[16:17], 0, v[2:3]
	s_addc_u32 s31, s35, s31
	s_lshl_b64 s[22:23], s[22:23], 2
	v_lshl_add_u64 v[4:5], s[8:9], 0, v[0:1]
	v_lshrrev_b64 v[6:7], 7, v[2:3]
	s_mov_b64 s[8:9], 0x180
	s_mov_b32 s10, -1
	s_add_u32 s22, s30, s22
	v_lshl_add_u64 v[6:7], v[6:7], 0, 1
	v_cmp_gt_u64_e64 s[28:29], s[8:9], v[2:3]
	s_mov_b64 s[8:9], 0x17f
	s_brev_b32 s11, -4
	s_addc_u32 s23, s31, s23
	v_lshl_add_u64 v[10:11], v[4:5], 2, s[20:21]
	v_cmp_lt_u64_e64 s[8:9], s[8:9], v[2:3]
	v_lshlrev_b64 v[12:13], 2, v[2:3]
	v_cmp_lt_u64_e32 vcc, s[10:11], v[2:3]
	v_and_b32_e32 v14, -2, v6
	v_mov_b32_e32 v15, v7
	v_mov_b32_e32 v3, 0
	s_add_u32 s20, s20, s22
	v_lshlrev_b64 v[16:17], 7, v[14:15]
	v_cmp_ne_u64_e64 s[10:11], v[6:7], v[14:15]
	v_lshlrev_b32_e32 v18, 2, v0
	v_mov_b32_e32 v19, v3
	s_addc_u32 s21, s21, s23
	v_mbcnt_lo_u32_b32 v6, -1, 0
	v_or_b32_e32 v16, v16, v0
	v_lshl_add_u64 v[20:21], s[20:21], 0, v[18:19]
	s_mov_b64 s[22:23], 0x200
	v_mbcnt_hi_u32_b32 v36, -1, v6
	v_mov_b32_e32 v6, 0x80
	v_cmp_gt_i32_e64 s[2:3], s16, v0
	v_lshrrev_b32_e32 v34, 4, v0
	v_cmp_eq_u32_e64 s[6:7], 0, v0
	v_and_b32_e32 v12, 0xfffffe00, v12
	v_or_b32_e32 v4, 0x80, v0
	v_mov_b32_e32 v2, v0
	v_mov_b32_e32 v5, v3
	v_lshlrev_b32_e32 v35, 2, v0
	v_lshl_add_u64 v[22:23], v[20:21], 0, s[22:23]
	s_mov_b64 s[30:31], 0
	s_mov_b64 s[34:35], 0x100
	s_mov_b64 s[36:37], 0x400
	v_lshlrev_b64 v[24:25], 2, v[16:17]
	s_mov_b64 s[38:39], 0x80
	v_and_b32_e32 v37, 63, v36
	v_lshl_or_b32 v38, v36, 2, v6
	s_xor_b64 s[40:41], vcc, -1
	v_mov_b64_e32 v[26:27], s[18:19]
	s_branch .LBB21_13
.LBB21_12:                              ;   in Loop: Header=BB21_13 Depth=1
	s_or_b64 exec, exec, s[18:19]
	s_add_u32 s14, s14, 64
	s_addc_u32 s15, s15, 0
	s_add_u32 s30, s30, 1
	s_addc_u32 s31, s31, 0
	s_add_u32 s20, s20, s24
	v_cmp_ge_i64_e32 vcc, s[14:15], v[26:27]
	v_lshl_add_u64 v[20:21], v[20:21], 0, s[24:25]
	v_lshl_add_u64 v[22:23], v[22:23], 0, s[24:25]
	s_addc_u32 s21, s21, s25
	s_cbranch_vccnz .LBB21_39
.LBB21_13:                              ; =>This Loop Header: Depth=1
                                        ;     Child Loop BB21_15 Depth 2
                                        ;     Child Loop BB21_31 Depth 2
	;; [unrolled: 1-line block ×3, first 2 shown]
	v_mov_b32_e32 v8, 0
	s_and_saveexec_b64 s[18:19], s[2:3]
	s_cbranch_execz .LBB21_17
; %bb.14:                               ;   in Loop: Header=BB21_13 Depth=1
	v_mov_b32_e32 v8, 0
	s_mov_b64 s[42:43], 0
	v_mov_b64_e32 v[6:7], v[20:21]
	v_mov_b32_e32 v9, v35
	v_mov_b32_e32 v28, v0
.LBB21_15:                              ;   Parent Loop BB21_13 Depth=1
                                        ; =>  This Inner Loop Header: Depth=2
	global_load_dword v29, v[6:7], off
	ds_read_b32 v30, v9
	v_add_u32_e32 v28, 0x80, v28
	v_cmp_le_i32_e32 vcc, s16, v28
	v_add_u32_e32 v9, 0x200, v9
	v_lshl_add_u64 v[6:7], v[6:7], 0, s[22:23]
	s_or_b64 s[42:43], vcc, s[42:43]
	s_waitcnt vmcnt(0) lgkmcnt(0)
	v_fmac_f32_e32 v8, v30, v29
	s_andn2_b64 exec, exec, s[42:43]
	s_cbranch_execnz .LBB21_15
; %bb.16:                               ;   in Loop: Header=BB21_13 Depth=1
	s_or_b64 exec, exec, s[42:43]
.LBB21_17:                              ;   in Loop: Header=BB21_13 Depth=1
	s_or_b64 exec, exec, s[18:19]
	s_and_b64 vcc, exec, s[26:27]
	s_cbranch_vccz .LBB21_24
; %bb.18:                               ;   in Loop: Header=BB21_13 Depth=1
	v_cmp_ne_u32_e32 vcc, 63, v37
	s_nop 1
	v_addc_co_u32_e32 v6, vcc, 0, v36, vcc
	v_lshlrev_b32_e32 v6, 2, v6
	ds_bpermute_b32 v6, v6, v8
	v_cmp_gt_u32_e32 vcc, 62, v37
	s_waitcnt lgkmcnt(0)
	v_add_f32_e32 v6, v8, v6
	v_cndmask_b32_e64 v7, 0, 2, vcc
	v_add_lshl_u32 v7, v7, v36, 2
	ds_bpermute_b32 v7, v7, v6
	v_cmp_gt_u32_e32 vcc, 60, v37
	s_waitcnt lgkmcnt(0)
	v_add_f32_e32 v6, v6, v7
	v_cndmask_b32_e64 v9, 0, 4, vcc
	v_add_lshl_u32 v9, v9, v36, 2
	;; [unrolled: 6-line block ×4, first 2 shown]
	ds_bpermute_b32 v7, v7, v6
	s_waitcnt lgkmcnt(0)
	v_add_f32_e32 v6, v6, v7
	ds_bpermute_b32 v7, v38, v6
	s_waitcnt lgkmcnt(0)
	v_add_f32_e32 v7, v6, v7
	s_and_saveexec_b64 s[18:19], s[4:5]
; %bb.19:                               ;   in Loop: Header=BB21_13 Depth=1
	ds_write_b32 v34, v7 offset:8192
; %bb.20:                               ;   in Loop: Header=BB21_13 Depth=1
	s_or_b64 exec, exec, s[18:19]
	s_mov_b64 s[42:43], 0
	s_mov_b64 s[18:19], 0
	s_waitcnt lgkmcnt(0)
	s_barrier
                                        ; implicit-def: $vgpr6
	s_and_saveexec_b64 s[44:45], s[6:7]
	s_xor_b64 s[44:45], exec, s[44:45]
	s_cbranch_execz .LBB21_22
; %bb.21:                               ;   in Loop: Header=BB21_13 Depth=1
	ds_read_b32 v6, v3 offset:8196
	s_mov_b64 s[18:19], exec
	s_waitcnt lgkmcnt(0)
	v_add_f32_e32 v6, v7, v6
.LBB21_22:                              ;   in Loop: Header=BB21_13 Depth=1
	s_or_b64 exec, exec, s[44:45]
	s_and_b64 vcc, exec, s[42:43]
	s_cbranch_vccnz .LBB21_25
.LBB21_23:                              ;   in Loop: Header=BB21_13 Depth=1
	v_mov_b32_e32 v8, v6
	s_and_saveexec_b64 s[42:43], s[18:19]
	s_cbranch_execnz .LBB21_26
	s_branch .LBB21_27
.LBB21_24:                              ;   in Loop: Header=BB21_13 Depth=1
	s_mov_b64 s[18:19], 0
                                        ; implicit-def: $vgpr6
	s_cbranch_execz .LBB21_23
.LBB21_25:                              ;   in Loop: Header=BB21_13 Depth=1
	s_andn2_b64 s[18:19], s[18:19], exec
	s_and_b64 s[42:43], s[6:7], exec
	s_or_b64 s[18:19], s[18:19], s[42:43]
	s_and_saveexec_b64 s[42:43], s[18:19]
.LBB21_26:                              ;   in Loop: Header=BB21_13 Depth=1
	ds_write_b32 v3, v8 offset:8192
.LBB21_27:                              ;   in Loop: Header=BB21_13 Depth=1
	s_or_b64 exec, exec, s[42:43]
	s_waitcnt lgkmcnt(0)
	s_barrier
	s_and_saveexec_b64 s[18:19], s[12:13]
	s_cbranch_execz .LBB21_12
; %bb.28:                               ;   in Loop: Header=BB21_13 Depth=1
	global_load_dword v8, v3, s[0:1]
	ds_read_b32 v9, v3 offset:8192
	s_mov_b64 s[44:45], s[28:29]
	v_mov_b64_e32 v[6:7], v[0:1]
	s_waitcnt vmcnt(0) lgkmcnt(0)
	v_mul_f32_e64 v28, v9, -v8
	v_mov_b64_e32 v[8:9], v[18:19]
	s_and_saveexec_b64 s[42:43], s[8:9]
	s_cbranch_execz .LBB21_36
; %bb.29:                               ;   in Loop: Header=BB21_13 Depth=1
	s_mul_i32 s33, s25, s30
	s_mul_i32 s44, s24, s31
	v_mov_b32_e32 v6, s30
	s_add_i32 s33, s44, s33
	v_mad_u64_u32 v[6:7], s[44:45], s24, v6, v[10:11]
	v_add_u32_e32 v7, s33, v7
	v_lshl_add_u64 v[8:9], v[6:7], 0, v[12:13]
	v_cmp_ge_u64_e32 vcc, v[8:9], v[6:7]
	s_mov_b64 s[46:47], -1
	s_and_b64 s[48:49], vcc, s[40:41]
	v_mov_b64_e32 v[6:7], v[0:1]
	v_mov_b64_e32 v[8:9], v[18:19]
	s_and_saveexec_b64 s[44:45], s[48:49]
	s_cbranch_execz .LBB21_35
; %bb.30:                               ;   in Loop: Header=BB21_13 Depth=1
	v_mov_b64_e32 v[8:9], v[4:5]
	v_mov_b32_e32 v29, v28
	s_mov_b64 s[46:47], 0
	v_mov_b64_e32 v[30:31], v[14:15]
	v_mov_b64_e32 v[32:33], v[22:23]
	;; [unrolled: 1-line block ×3, first 2 shown]
.LBB21_31:                              ;   Parent Loop BB21_13 Depth=1
                                        ; =>  This Inner Loop Header: Depth=2
	global_load_dword v40, v[32:33], off offset:-512
	global_load_dword v41, v[32:33], off
	v_lshlrev_b32_e32 v39, 2, v6
	v_lshlrev_b32_e32 v43, 2, v8
	ds_read_b32 v42, v39
	ds_read_b32 v43, v43
	v_lshl_add_u64 v[30:31], v[30:31], 0, -2
	v_cmp_eq_u64_e32 vcc, 0, v[30:31]
	v_lshl_add_u64 v[8:9], v[8:9], 0, s[34:35]
	v_lshl_add_u64 v[6:7], v[6:7], 0, s[34:35]
	s_or_b64 s[46:47], vcc, s[46:47]
	s_waitcnt vmcnt(0) lgkmcnt(0)
	v_pk_fma_f32 v[40:41], v[28:29], v[42:43], v[40:41]
	global_store_dword v[32:33], v40, off offset:-512
	global_store_dword v[32:33], v41, off
	v_lshl_add_u64 v[32:33], v[32:33], 0, s[36:37]
	s_andn2_b64 exec, exec, s[46:47]
	s_cbranch_execnz .LBB21_31
; %bb.32:                               ;   in Loop: Header=BB21_13 Depth=1
	s_or_b64 exec, exec, s[46:47]
	s_mov_b64 s[46:47], 0
	s_and_saveexec_b64 s[48:49], s[10:11]
; %bb.33:                               ;   in Loop: Header=BB21_13 Depth=1
	s_mov_b64 s[46:47], exec
; %bb.34:                               ;   in Loop: Header=BB21_13 Depth=1
	s_or_b64 exec, exec, s[48:49]
	s_orn2_b64 s[46:47], s[46:47], exec
	v_mov_b64_e32 v[6:7], v[16:17]
	v_mov_b64_e32 v[8:9], v[24:25]
.LBB21_35:                              ;   in Loop: Header=BB21_13 Depth=1
	s_or_b64 exec, exec, s[44:45]
	s_andn2_b64 s[44:45], s[28:29], exec
	s_and_b64 s[46:47], s[46:47], exec
	s_or_b64 s[44:45], s[44:45], s[46:47]
.LBB21_36:                              ;   in Loop: Header=BB21_13 Depth=1
	s_or_b64 exec, exec, s[42:43]
	s_and_b64 exec, exec, s[44:45]
	s_cbranch_execz .LBB21_12
; %bb.37:                               ;   in Loop: Header=BB21_13 Depth=1
	v_lshlrev_b32_e32 v29, 2, v6
	v_lshl_add_u64 v[8:9], s[20:21], 0, v[8:9]
	s_mov_b64 s[42:43], 0
.LBB21_38:                              ;   Parent Loop BB21_13 Depth=1
                                        ; =>  This Inner Loop Header: Depth=2
	global_load_dword v30, v[8:9], off
	ds_read_b32 v31, v29
	v_lshl_add_u64 v[6:7], v[6:7], 0, s[38:39]
	v_cmp_le_i64_e32 vcc, s[16:17], v[6:7]
	v_add_u32_e32 v29, 0x200, v29
	s_or_b64 s[42:43], vcc, s[42:43]
	s_waitcnt vmcnt(0) lgkmcnt(0)
	v_fmac_f32_e32 v30, v28, v31
	global_store_dword v[8:9], v30, off
	v_lshl_add_u64 v[8:9], v[8:9], 0, s[22:23]
	s_andn2_b64 exec, exec, s[42:43]
	s_cbranch_execnz .LBB21_38
	s_branch .LBB21_12
.LBB21_39:
	s_endpgm
	.section	.rodata,"a",@progbits
	.p2align	6, 0x0
	.amdhsa_kernel _ZN9rocsolver6v33100L22larf_left_kernel_smallILi128EflPfEEvT1_S3_T2_lS3_lPKT0_lS4_lS3_l
		.amdhsa_group_segment_fixed_size 8704
		.amdhsa_private_segment_fixed_size 0
		.amdhsa_kernarg_size 96
		.amdhsa_user_sgpr_count 2
		.amdhsa_user_sgpr_dispatch_ptr 0
		.amdhsa_user_sgpr_queue_ptr 0
		.amdhsa_user_sgpr_kernarg_segment_ptr 1
		.amdhsa_user_sgpr_dispatch_id 0
		.amdhsa_user_sgpr_kernarg_preload_length 0
		.amdhsa_user_sgpr_kernarg_preload_offset 0
		.amdhsa_user_sgpr_private_segment_size 0
		.amdhsa_uses_dynamic_stack 0
		.amdhsa_enable_private_segment 0
		.amdhsa_system_sgpr_workgroup_id_x 1
		.amdhsa_system_sgpr_workgroup_id_y 1
		.amdhsa_system_sgpr_workgroup_id_z 0
		.amdhsa_system_sgpr_workgroup_info 0
		.amdhsa_system_vgpr_workitem_id 0
		.amdhsa_next_free_vgpr 44
		.amdhsa_next_free_sgpr 50
		.amdhsa_accum_offset 44
		.amdhsa_reserve_vcc 1
		.amdhsa_float_round_mode_32 0
		.amdhsa_float_round_mode_16_64 0
		.amdhsa_float_denorm_mode_32 3
		.amdhsa_float_denorm_mode_16_64 3
		.amdhsa_dx10_clamp 1
		.amdhsa_ieee_mode 1
		.amdhsa_fp16_overflow 0
		.amdhsa_tg_split 0
		.amdhsa_exception_fp_ieee_invalid_op 0
		.amdhsa_exception_fp_denorm_src 0
		.amdhsa_exception_fp_ieee_div_zero 0
		.amdhsa_exception_fp_ieee_overflow 0
		.amdhsa_exception_fp_ieee_underflow 0
		.amdhsa_exception_fp_ieee_inexact 0
		.amdhsa_exception_int_div_zero 0
	.end_amdhsa_kernel
	.section	.text._ZN9rocsolver6v33100L22larf_left_kernel_smallILi128EflPfEEvT1_S3_T2_lS3_lPKT0_lS4_lS3_l,"axG",@progbits,_ZN9rocsolver6v33100L22larf_left_kernel_smallILi128EflPfEEvT1_S3_T2_lS3_lPKT0_lS4_lS3_l,comdat
.Lfunc_end21:
	.size	_ZN9rocsolver6v33100L22larf_left_kernel_smallILi128EflPfEEvT1_S3_T2_lS3_lPKT0_lS4_lS3_l, .Lfunc_end21-_ZN9rocsolver6v33100L22larf_left_kernel_smallILi128EflPfEEvT1_S3_T2_lS3_lPKT0_lS4_lS3_l
                                        ; -- End function
	.set _ZN9rocsolver6v33100L22larf_left_kernel_smallILi128EflPfEEvT1_S3_T2_lS3_lPKT0_lS4_lS3_l.num_vgpr, 44
	.set _ZN9rocsolver6v33100L22larf_left_kernel_smallILi128EflPfEEvT1_S3_T2_lS3_lPKT0_lS4_lS3_l.num_agpr, 0
	.set _ZN9rocsolver6v33100L22larf_left_kernel_smallILi128EflPfEEvT1_S3_T2_lS3_lPKT0_lS4_lS3_l.numbered_sgpr, 50
	.set _ZN9rocsolver6v33100L22larf_left_kernel_smallILi128EflPfEEvT1_S3_T2_lS3_lPKT0_lS4_lS3_l.num_named_barrier, 0
	.set _ZN9rocsolver6v33100L22larf_left_kernel_smallILi128EflPfEEvT1_S3_T2_lS3_lPKT0_lS4_lS3_l.private_seg_size, 0
	.set _ZN9rocsolver6v33100L22larf_left_kernel_smallILi128EflPfEEvT1_S3_T2_lS3_lPKT0_lS4_lS3_l.uses_vcc, 1
	.set _ZN9rocsolver6v33100L22larf_left_kernel_smallILi128EflPfEEvT1_S3_T2_lS3_lPKT0_lS4_lS3_l.uses_flat_scratch, 0
	.set _ZN9rocsolver6v33100L22larf_left_kernel_smallILi128EflPfEEvT1_S3_T2_lS3_lPKT0_lS4_lS3_l.has_dyn_sized_stack, 0
	.set _ZN9rocsolver6v33100L22larf_left_kernel_smallILi128EflPfEEvT1_S3_T2_lS3_lPKT0_lS4_lS3_l.has_recursion, 0
	.set _ZN9rocsolver6v33100L22larf_left_kernel_smallILi128EflPfEEvT1_S3_T2_lS3_lPKT0_lS4_lS3_l.has_indirect_call, 0
	.section	.AMDGPU.csdata,"",@progbits
; Kernel info:
; codeLenInByte = 1988
; TotalNumSgprs: 56
; NumVgprs: 44
; NumAgprs: 0
; TotalNumVgprs: 44
; ScratchSize: 0
; MemoryBound: 0
; FloatMode: 240
; IeeeMode: 1
; LDSByteSize: 8704 bytes/workgroup (compile time only)
; SGPRBlocks: 6
; VGPRBlocks: 5
; NumSGPRsForWavesPerEU: 56
; NumVGPRsForWavesPerEU: 44
; AccumOffset: 44
; Occupancy: 8
; WaveLimiterHint : 1
; COMPUTE_PGM_RSRC2:SCRATCH_EN: 0
; COMPUTE_PGM_RSRC2:USER_SGPR: 2
; COMPUTE_PGM_RSRC2:TRAP_HANDLER: 0
; COMPUTE_PGM_RSRC2:TGID_X_EN: 1
; COMPUTE_PGM_RSRC2:TGID_Y_EN: 1
; COMPUTE_PGM_RSRC2:TGID_Z_EN: 0
; COMPUTE_PGM_RSRC2:TIDIG_COMP_CNT: 0
; COMPUTE_PGM_RSRC3_GFX90A:ACCUM_OFFSET: 10
; COMPUTE_PGM_RSRC3_GFX90A:TG_SPLIT: 0
	.section	.text._ZN9rocsolver6v33100L22larf_left_kernel_smallILi256EflPfEEvT1_S3_T2_lS3_lPKT0_lS4_lS3_l,"axG",@progbits,_ZN9rocsolver6v33100L22larf_left_kernel_smallILi256EflPfEEvT1_S3_T2_lS3_lPKT0_lS4_lS3_l,comdat
	.globl	_ZN9rocsolver6v33100L22larf_left_kernel_smallILi256EflPfEEvT1_S3_T2_lS3_lPKT0_lS4_lS3_l ; -- Begin function _ZN9rocsolver6v33100L22larf_left_kernel_smallILi256EflPfEEvT1_S3_T2_lS3_lPKT0_lS4_lS3_l
	.p2align	8
	.type	_ZN9rocsolver6v33100L22larf_left_kernel_smallILi256EflPfEEvT1_S3_T2_lS3_lPKT0_lS4_lS3_l,@function
_ZN9rocsolver6v33100L22larf_left_kernel_smallILi256EflPfEEvT1_S3_T2_lS3_lPKT0_lS4_lS3_l: ; @_ZN9rocsolver6v33100L22larf_left_kernel_smallILi256EflPfEEvT1_S3_T2_lS3_lPKT0_lS4_lS3_l
; %bb.0:
	s_load_dwordx16 s[16:31], s[0:1], 0x0
	s_mov_b32 s14, s3
	s_mov_b64 s[6:7], 0
	s_waitcnt lgkmcnt(0)
	v_cmp_gt_i64_e64 s[4:5], s[24:25], 0
	s_and_b64 vcc, exec, s[4:5]
	s_cbranch_vccnz .LBB22_2
; %bb.1:
	s_sub_u32 s3, 1, s16
	s_subb_u32 s4, 0, s17
	s_mul_i32 s4, s24, s4
	s_mul_hi_u32 s5, s24, s3
	s_add_i32 s4, s5, s4
	s_mul_i32 s5, s25, s3
	s_add_i32 s7, s4, s5
	s_mul_i32 s6, s24, s3
.LBB22_2:
	v_mov_b32_e32 v1, 0
	s_mov_b32 s15, 0
	v_cmp_gt_i64_e64 s[12:13], s[16:17], v[0:1]
	v_not_b32_e32 v2, v0
	s_and_saveexec_b64 s[4:5], s[12:13]
	s_cbranch_execz .LBB22_10
; %bb.3:
	v_mov_b32_e32 v3, -1
	s_mul_i32 s3, s27, s2
	s_mul_hi_u32 s8, s26, s2
	v_lshl_add_u64 v[4:5], s[16:17], 0, v[2:3]
	s_mov_b64 s[10:11], 0xff
	s_add_i32 s9, s8, s3
	s_mul_i32 s8, s26, s2
	v_cmp_lt_u64_e32 vcc, s[10:11], v[4:5]
	s_mov_b64 s[26:27], -1
	v_mov_b64_e32 v[8:9], v[0:1]
	s_and_saveexec_b64 s[10:11], vcc
	s_cbranch_execz .LBB22_7
; %bb.4:
	s_lshl_b64 s[26:27], s[8:9], 2
	s_add_u32 s3, s20, s26
	s_addc_u32 s33, s21, s27
	s_lshl_b64 s[26:27], s[22:23], 2
	s_add_u32 s3, s3, s26
	v_lshrrev_b64 v[4:5], 8, v[4:5]
	s_addc_u32 s33, s33, s27
	s_lshl_b64 s[26:27], s[6:7], 2
	v_lshl_add_u64 v[4:5], v[4:5], 0, 1
	s_add_u32 s26, s3, s26
	v_and_b32_e32 v6, -2, v4
	v_mov_b32_e32 v7, v5
	v_mov_b32_e32 v11, 0
	s_addc_u32 s27, s33, s27
	s_mov_b32 s3, s24
	s_mov_b32 s33, s25
	v_or_b32_e32 v8, 0x100, v0
	v_mov_b32_e32 v10, v0
	v_mov_b32_e32 v9, v11
	s_mov_b64 s[34:35], 0
	s_mov_b64 s[36:37], 0x200
	v_mov_b64_e32 v[12:13], v[6:7]
.LBB22_5:                               ; =>This Inner Loop Header: Depth=1
	v_mul_lo_u32 v19, v11, s24
	v_mul_lo_u32 v20, v10, s25
	v_mad_u64_u32 v[16:17], s[38:39], v10, s24, 0
	v_mul_lo_u32 v3, v9, s3
	v_mul_lo_u32 v18, v8, s33
	v_mad_u64_u32 v[14:15], s[38:39], v8, s3, 0
	v_add3_u32 v17, v17, v20, v19
	v_add3_u32 v15, v15, v18, v3
	v_lshl_add_u64 v[16:17], v[16:17], 2, s[26:27]
	v_lshl_add_u64 v[14:15], v[14:15], 2, s[26:27]
	global_load_dword v3, v[16:17], off
	global_load_dword v18, v[14:15], off
	v_lshl_add_u64 v[12:13], v[12:13], 0, -2
	v_cmp_eq_u64_e32 vcc, 0, v[12:13]
	v_lshlrev_b32_e32 v14, 2, v10
	v_lshlrev_b32_e32 v15, 2, v8
	v_lshl_add_u64 v[8:9], v[8:9], 0, s[36:37]
	v_lshl_add_u64 v[10:11], v[10:11], 0, s[36:37]
	s_or_b64 s[34:35], vcc, s[34:35]
	s_waitcnt vmcnt(1)
	ds_write_b32 v14, v3
	s_waitcnt vmcnt(0)
	ds_write_b32 v15, v18
	s_andn2_b64 exec, exec, s[34:35]
	s_cbranch_execnz .LBB22_5
; %bb.6:
	s_or_b64 exec, exec, s[34:35]
	v_lshlrev_b64 v[8:9], 8, v[6:7]
	v_cmp_ne_u64_e32 vcc, v[4:5], v[6:7]
	v_or_b32_e32 v8, v8, v0
	s_orn2_b64 s[26:27], vcc, exec
.LBB22_7:
	s_or_b64 exec, exec, s[10:11]
	s_and_b64 exec, exec, s[26:27]
	s_cbranch_execz .LBB22_10
; %bb.8:
	v_mad_u64_u32 v[4:5], s[10:11], v8, s24, 0
	s_lshl_b64 s[8:9], s[8:9], 2
	s_lshl_b64 s[6:7], s[6:7], 2
	;; [unrolled: 1-line block ×3, first 2 shown]
	s_add_u32 s3, s20, s10
	s_addc_u32 s10, s21, s11
	s_add_u32 s3, s3, s6
	s_addc_u32 s7, s10, s7
	v_mul_lo_u32 v3, v9, s24
	v_mul_lo_u32 v6, v8, s25
	s_add_u32 s6, s3, s8
	v_add3_u32 v5, v5, v6, v3
	s_addc_u32 s7, s7, s9
	v_lshl_add_u64 v[4:5], v[4:5], 2, s[6:7]
	s_lshl_b64 s[6:7], s[24:25], 10
	v_lshlrev_b32_e32 v3, 2, v8
	s_mov_b64 s[8:9], 0
	s_mov_b64 s[10:11], 0x100
.LBB22_9:                               ; =>This Inner Loop Header: Depth=1
	global_load_dword v6, v[4:5], off
	v_lshl_add_u64 v[8:9], v[8:9], 0, s[10:11]
	v_cmp_le_i64_e32 vcc, s[16:17], v[8:9]
	v_lshl_add_u64 v[4:5], v[4:5], 0, s[6:7]
	s_or_b64 s[8:9], vcc, s[8:9]
	s_waitcnt vmcnt(0)
	ds_write_b32 v3, v6
	v_add_u32_e32 v3, 0x400, v3
	s_andn2_b64 exec, exec, s[8:9]
	s_cbranch_execnz .LBB22_9
.LBB22_10:
	s_or_b64 exec, exec, s[4:5]
	v_mov_b64_e32 v[4:5], s[14:15]
	v_cmp_le_i64_e32 vcc, s[18:19], v[4:5]
	s_waitcnt lgkmcnt(0)
	s_barrier
	s_cbranch_vccnz .LBB22_39
; %bb.11:
	s_load_dwordx8 s[20:27], s[0:1], 0x40
	s_mul_i32 s0, s31, s2
	s_mul_hi_u32 s1, s30, s2
	s_add_i32 s1, s1, s0
	s_mul_i32 s0, s30, s2
	s_waitcnt lgkmcnt(0)
	s_mul_i32 s3, s27, s2
	s_mul_hi_u32 s4, s26, s2
	s_add_i32 s35, s4, s3
	s_lshl_b64 s[0:1], s[0:1], 2
	s_add_u32 s0, s28, s0
	s_addc_u32 s1, s29, s1
	s_cmp_gt_i32 s16, 1
	s_mul_i32 s8, s25, s14
	s_mul_hi_u32 s9, s24, s14
	s_mul_i32 s34, s26, s2
	s_cselect_b64 s[26:27], -1, 0
	s_add_i32 s31, s9, s8
	s_mul_i32 s30, s24, s14
	s_add_u32 s8, s34, s30
	s_addc_u32 s9, s35, s31
	s_add_u32 s8, s8, s22
	v_and_b32_e32 v3, 63, v0
	s_addc_u32 s9, s9, s23
	s_lshl_b64 s[24:25], s[24:25], 8
	s_lshl_b64 s[34:35], s[34:35], 2
	;; [unrolled: 1-line block ×3, first 2 shown]
	v_cmp_eq_u32_e64 s[4:5], 0, v3
	v_mov_b32_e32 v3, -1
	s_add_u32 s30, s34, s30
	v_lshl_add_u64 v[2:3], s[16:17], 0, v[2:3]
	s_addc_u32 s31, s35, s31
	s_lshl_b64 s[22:23], s[22:23], 2
	v_lshl_add_u64 v[4:5], s[8:9], 0, v[0:1]
	v_lshrrev_b64 v[6:7], 8, v[2:3]
	s_mov_b64 s[8:9], 0x300
	s_mov_b32 s10, -1
	s_add_u32 s22, s30, s22
	v_lshl_add_u64 v[6:7], v[6:7], 0, 1
	v_cmp_gt_u64_e64 s[28:29], s[8:9], v[2:3]
	s_mov_b64 s[8:9], 0x2ff
	s_brev_b32 s11, -4
	s_addc_u32 s23, s31, s23
	v_lshl_add_u64 v[10:11], v[4:5], 2, s[20:21]
	v_cmp_lt_u64_e64 s[8:9], s[8:9], v[2:3]
	v_lshlrev_b64 v[12:13], 2, v[2:3]
	v_cmp_lt_u64_e32 vcc, s[10:11], v[2:3]
	v_and_b32_e32 v14, -2, v6
	v_mov_b32_e32 v15, v7
	v_mov_b32_e32 v3, 0
	s_add_u32 s20, s20, s22
	v_lshlrev_b64 v[16:17], 8, v[14:15]
	v_cmp_ne_u64_e64 s[10:11], v[6:7], v[14:15]
	v_lshlrev_b32_e32 v18, 2, v0
	v_mov_b32_e32 v19, v3
	s_addc_u32 s21, s21, s23
	v_mbcnt_lo_u32_b32 v6, -1, 0
	v_or_b32_e32 v16, v16, v0
	v_lshl_add_u64 v[20:21], s[20:21], 0, v[18:19]
	s_mov_b64 s[22:23], 0x400
	v_mbcnt_hi_u32_b32 v37, -1, v6
	v_mov_b32_e32 v6, 0x80
	v_cmp_gt_i32_e64 s[2:3], s16, v0
	v_lshrrev_b32_e32 v34, 4, v0
	v_cmp_eq_u32_e64 s[6:7], 0, v0
	v_and_b32_e32 v12, 0xfffffc00, v12
	v_or_b32_e32 v4, 0x100, v0
	v_mov_b32_e32 v2, v0
	v_mov_b32_e32 v5, v3
	v_lshlrev_b32_e32 v35, 2, v0
	v_lshl_add_u64 v[22:23], v[20:21], 0, s[22:23]
	s_mov_b64 s[30:31], 0
	v_mov_b32_e32 v36, 0x2004
	s_mov_b64 s[34:35], 0x200
	s_mov_b64 s[36:37], 0x800
	v_lshlrev_b64 v[24:25], 2, v[16:17]
	s_mov_b64 s[38:39], 0x100
	v_and_b32_e32 v38, 63, v37
	v_lshl_or_b32 v39, v37, 2, v6
	s_xor_b64 s[40:41], vcc, -1
	v_mov_b64_e32 v[26:27], s[18:19]
	s_branch .LBB22_13
.LBB22_12:                              ;   in Loop: Header=BB22_13 Depth=1
	s_or_b64 exec, exec, s[18:19]
	s_add_u32 s14, s14, 64
	s_addc_u32 s15, s15, 0
	s_add_u32 s30, s30, 1
	s_addc_u32 s31, s31, 0
	s_add_u32 s20, s20, s24
	v_cmp_ge_i64_e32 vcc, s[14:15], v[26:27]
	v_lshl_add_u64 v[20:21], v[20:21], 0, s[24:25]
	v_lshl_add_u64 v[22:23], v[22:23], 0, s[24:25]
	s_addc_u32 s21, s21, s25
	s_cbranch_vccnz .LBB22_39
.LBB22_13:                              ; =>This Loop Header: Depth=1
                                        ;     Child Loop BB22_15 Depth 2
                                        ;     Child Loop BB22_31 Depth 2
	;; [unrolled: 1-line block ×3, first 2 shown]
	v_mov_b32_e32 v8, 0
	s_and_saveexec_b64 s[18:19], s[2:3]
	s_cbranch_execz .LBB22_17
; %bb.14:                               ;   in Loop: Header=BB22_13 Depth=1
	v_mov_b32_e32 v8, 0
	s_mov_b64 s[42:43], 0
	v_mov_b64_e32 v[6:7], v[20:21]
	v_mov_b32_e32 v9, v35
	v_mov_b32_e32 v28, v0
.LBB22_15:                              ;   Parent Loop BB22_13 Depth=1
                                        ; =>  This Inner Loop Header: Depth=2
	global_load_dword v29, v[6:7], off
	ds_read_b32 v30, v9
	v_add_u32_e32 v28, 0x100, v28
	v_cmp_le_i32_e32 vcc, s16, v28
	v_add_u32_e32 v9, 0x400, v9
	v_lshl_add_u64 v[6:7], v[6:7], 0, s[22:23]
	s_or_b64 s[42:43], vcc, s[42:43]
	s_waitcnt vmcnt(0) lgkmcnt(0)
	v_fmac_f32_e32 v8, v30, v29
	s_andn2_b64 exec, exec, s[42:43]
	s_cbranch_execnz .LBB22_15
; %bb.16:                               ;   in Loop: Header=BB22_13 Depth=1
	s_or_b64 exec, exec, s[42:43]
.LBB22_17:                              ;   in Loop: Header=BB22_13 Depth=1
	s_or_b64 exec, exec, s[18:19]
	s_and_b64 vcc, exec, s[26:27]
	s_cbranch_vccz .LBB22_24
; %bb.18:                               ;   in Loop: Header=BB22_13 Depth=1
	v_cmp_ne_u32_e32 vcc, 63, v38
	s_nop 1
	v_addc_co_u32_e32 v6, vcc, 0, v37, vcc
	v_lshlrev_b32_e32 v6, 2, v6
	ds_bpermute_b32 v6, v6, v8
	v_cmp_gt_u32_e32 vcc, 62, v38
	s_waitcnt lgkmcnt(0)
	v_add_f32_e32 v6, v8, v6
	v_cndmask_b32_e64 v7, 0, 2, vcc
	v_add_lshl_u32 v7, v7, v37, 2
	ds_bpermute_b32 v7, v7, v6
	v_cmp_gt_u32_e32 vcc, 60, v38
	s_waitcnt lgkmcnt(0)
	v_add_f32_e32 v6, v6, v7
	v_cndmask_b32_e64 v9, 0, 4, vcc
	v_add_lshl_u32 v9, v9, v37, 2
	ds_bpermute_b32 v7, v9, v6
	v_cmp_gt_u32_e32 vcc, 56, v38
	s_waitcnt lgkmcnt(0)
	v_add_f32_e32 v6, v6, v7
	v_cndmask_b32_e64 v9, 0, 8, vcc
	v_add_lshl_u32 v9, v9, v37, 2
	ds_bpermute_b32 v7, v9, v6
	v_cmp_gt_u32_e32 vcc, 48, v38
	s_waitcnt lgkmcnt(0)
	v_add_f32_e32 v6, v6, v7
	v_cndmask_b32_e64 v9, 0, 16, vcc
	v_add_lshl_u32 v7, v9, v37, 2
	ds_bpermute_b32 v7, v7, v6
	s_waitcnt lgkmcnt(0)
	v_add_f32_e32 v6, v6, v7
	ds_bpermute_b32 v7, v39, v6
	s_waitcnt lgkmcnt(0)
	v_add_f32_e32 v7, v6, v7
	s_and_saveexec_b64 s[18:19], s[4:5]
; %bb.19:                               ;   in Loop: Header=BB22_13 Depth=1
	ds_write_b32 v34, v7 offset:8192
; %bb.20:                               ;   in Loop: Header=BB22_13 Depth=1
	s_or_b64 exec, exec, s[18:19]
	s_mov_b64 s[42:43], 0
	s_mov_b64 s[18:19], 0
	s_waitcnt lgkmcnt(0)
	s_barrier
                                        ; implicit-def: $vgpr6
	s_and_saveexec_b64 s[44:45], s[6:7]
	s_xor_b64 s[44:45], exec, s[44:45]
	s_cbranch_execz .LBB22_22
; %bb.21:                               ;   in Loop: Header=BB22_13 Depth=1
	ds_read2_b32 v[28:29], v36 offset1:1
	ds_read_b32 v6, v3 offset:8204
	s_mov_b64 s[18:19], exec
	s_waitcnt lgkmcnt(1)
	v_add_f32_e32 v7, v7, v28
	v_add_f32_e32 v7, v7, v29
	s_waitcnt lgkmcnt(0)
	v_add_f32_e32 v6, v7, v6
.LBB22_22:                              ;   in Loop: Header=BB22_13 Depth=1
	s_or_b64 exec, exec, s[44:45]
	s_and_b64 vcc, exec, s[42:43]
	s_cbranch_vccnz .LBB22_25
.LBB22_23:                              ;   in Loop: Header=BB22_13 Depth=1
	v_mov_b32_e32 v8, v6
	s_and_saveexec_b64 s[42:43], s[18:19]
	s_cbranch_execnz .LBB22_26
	s_branch .LBB22_27
.LBB22_24:                              ;   in Loop: Header=BB22_13 Depth=1
	s_mov_b64 s[18:19], 0
                                        ; implicit-def: $vgpr6
	s_cbranch_execz .LBB22_23
.LBB22_25:                              ;   in Loop: Header=BB22_13 Depth=1
	s_andn2_b64 s[18:19], s[18:19], exec
	s_and_b64 s[42:43], s[6:7], exec
	s_or_b64 s[18:19], s[18:19], s[42:43]
	s_and_saveexec_b64 s[42:43], s[18:19]
.LBB22_26:                              ;   in Loop: Header=BB22_13 Depth=1
	ds_write_b32 v3, v8 offset:8192
.LBB22_27:                              ;   in Loop: Header=BB22_13 Depth=1
	s_or_b64 exec, exec, s[42:43]
	s_waitcnt lgkmcnt(0)
	s_barrier
	s_and_saveexec_b64 s[18:19], s[12:13]
	s_cbranch_execz .LBB22_12
; %bb.28:                               ;   in Loop: Header=BB22_13 Depth=1
	global_load_dword v8, v3, s[0:1]
	ds_read_b32 v9, v3 offset:8192
	s_mov_b64 s[44:45], s[28:29]
	v_mov_b64_e32 v[6:7], v[0:1]
	s_waitcnt vmcnt(0) lgkmcnt(0)
	v_mul_f32_e64 v28, v9, -v8
	v_mov_b64_e32 v[8:9], v[18:19]
	s_and_saveexec_b64 s[42:43], s[8:9]
	s_cbranch_execz .LBB22_36
; %bb.29:                               ;   in Loop: Header=BB22_13 Depth=1
	s_mul_i32 s33, s25, s30
	s_mul_i32 s44, s24, s31
	v_mov_b32_e32 v6, s30
	s_add_i32 s33, s44, s33
	v_mad_u64_u32 v[6:7], s[44:45], s24, v6, v[10:11]
	v_add_u32_e32 v7, s33, v7
	v_lshl_add_u64 v[8:9], v[6:7], 0, v[12:13]
	v_cmp_ge_u64_e32 vcc, v[8:9], v[6:7]
	s_mov_b64 s[46:47], -1
	s_and_b64 s[48:49], vcc, s[40:41]
	v_mov_b64_e32 v[6:7], v[0:1]
	v_mov_b64_e32 v[8:9], v[18:19]
	s_and_saveexec_b64 s[44:45], s[48:49]
	s_cbranch_execz .LBB22_35
; %bb.30:                               ;   in Loop: Header=BB22_13 Depth=1
	v_mov_b64_e32 v[8:9], v[4:5]
	v_mov_b32_e32 v29, v28
	s_mov_b64 s[46:47], 0
	v_mov_b64_e32 v[30:31], v[14:15]
	v_mov_b64_e32 v[32:33], v[22:23]
	;; [unrolled: 1-line block ×3, first 2 shown]
.LBB22_31:                              ;   Parent Loop BB22_13 Depth=1
                                        ; =>  This Inner Loop Header: Depth=2
	global_load_dword v40, v[32:33], off offset:-1024
	global_load_dword v41, v[32:33], off
	v_lshlrev_b32_e32 v42, 2, v6
	v_lshlrev_b32_e32 v43, 2, v8
	ds_read_b32 v42, v42
	ds_read_b32 v43, v43
	v_lshl_add_u64 v[30:31], v[30:31], 0, -2
	v_cmp_eq_u64_e32 vcc, 0, v[30:31]
	v_lshl_add_u64 v[8:9], v[8:9], 0, s[34:35]
	v_lshl_add_u64 v[6:7], v[6:7], 0, s[34:35]
	s_or_b64 s[46:47], vcc, s[46:47]
	s_waitcnt vmcnt(0) lgkmcnt(0)
	v_pk_fma_f32 v[40:41], v[28:29], v[42:43], v[40:41]
	global_store_dword v[32:33], v40, off offset:-1024
	global_store_dword v[32:33], v41, off
	v_lshl_add_u64 v[32:33], v[32:33], 0, s[36:37]
	s_andn2_b64 exec, exec, s[46:47]
	s_cbranch_execnz .LBB22_31
; %bb.32:                               ;   in Loop: Header=BB22_13 Depth=1
	s_or_b64 exec, exec, s[46:47]
	s_mov_b64 s[46:47], 0
	s_and_saveexec_b64 s[48:49], s[10:11]
; %bb.33:                               ;   in Loop: Header=BB22_13 Depth=1
	s_mov_b64 s[46:47], exec
; %bb.34:                               ;   in Loop: Header=BB22_13 Depth=1
	s_or_b64 exec, exec, s[48:49]
	s_orn2_b64 s[46:47], s[46:47], exec
	v_mov_b64_e32 v[6:7], v[16:17]
	v_mov_b64_e32 v[8:9], v[24:25]
.LBB22_35:                              ;   in Loop: Header=BB22_13 Depth=1
	s_or_b64 exec, exec, s[44:45]
	s_andn2_b64 s[44:45], s[28:29], exec
	s_and_b64 s[46:47], s[46:47], exec
	s_or_b64 s[44:45], s[44:45], s[46:47]
.LBB22_36:                              ;   in Loop: Header=BB22_13 Depth=1
	s_or_b64 exec, exec, s[42:43]
	s_and_b64 exec, exec, s[44:45]
	s_cbranch_execz .LBB22_12
; %bb.37:                               ;   in Loop: Header=BB22_13 Depth=1
	v_lshlrev_b32_e32 v29, 2, v6
	v_lshl_add_u64 v[8:9], s[20:21], 0, v[8:9]
	s_mov_b64 s[42:43], 0
.LBB22_38:                              ;   Parent Loop BB22_13 Depth=1
                                        ; =>  This Inner Loop Header: Depth=2
	global_load_dword v30, v[8:9], off
	ds_read_b32 v31, v29
	v_lshl_add_u64 v[6:7], v[6:7], 0, s[38:39]
	v_cmp_le_i64_e32 vcc, s[16:17], v[6:7]
	v_add_u32_e32 v29, 0x400, v29
	s_or_b64 s[42:43], vcc, s[42:43]
	s_waitcnt vmcnt(0) lgkmcnt(0)
	v_fmac_f32_e32 v30, v28, v31
	global_store_dword v[8:9], v30, off
	v_lshl_add_u64 v[8:9], v[8:9], 0, s[22:23]
	s_andn2_b64 exec, exec, s[42:43]
	s_cbranch_execnz .LBB22_38
	s_branch .LBB22_12
.LBB22_39:
	s_endpgm
	.section	.rodata,"a",@progbits
	.p2align	6, 0x0
	.amdhsa_kernel _ZN9rocsolver6v33100L22larf_left_kernel_smallILi256EflPfEEvT1_S3_T2_lS3_lPKT0_lS4_lS3_l
		.amdhsa_group_segment_fixed_size 9216
		.amdhsa_private_segment_fixed_size 0
		.amdhsa_kernarg_size 96
		.amdhsa_user_sgpr_count 2
		.amdhsa_user_sgpr_dispatch_ptr 0
		.amdhsa_user_sgpr_queue_ptr 0
		.amdhsa_user_sgpr_kernarg_segment_ptr 1
		.amdhsa_user_sgpr_dispatch_id 0
		.amdhsa_user_sgpr_kernarg_preload_length 0
		.amdhsa_user_sgpr_kernarg_preload_offset 0
		.amdhsa_user_sgpr_private_segment_size 0
		.amdhsa_uses_dynamic_stack 0
		.amdhsa_enable_private_segment 0
		.amdhsa_system_sgpr_workgroup_id_x 1
		.amdhsa_system_sgpr_workgroup_id_y 1
		.amdhsa_system_sgpr_workgroup_id_z 0
		.amdhsa_system_sgpr_workgroup_info 0
		.amdhsa_system_vgpr_workitem_id 0
		.amdhsa_next_free_vgpr 44
		.amdhsa_next_free_sgpr 50
		.amdhsa_accum_offset 44
		.amdhsa_reserve_vcc 1
		.amdhsa_float_round_mode_32 0
		.amdhsa_float_round_mode_16_64 0
		.amdhsa_float_denorm_mode_32 3
		.amdhsa_float_denorm_mode_16_64 3
		.amdhsa_dx10_clamp 1
		.amdhsa_ieee_mode 1
		.amdhsa_fp16_overflow 0
		.amdhsa_tg_split 0
		.amdhsa_exception_fp_ieee_invalid_op 0
		.amdhsa_exception_fp_denorm_src 0
		.amdhsa_exception_fp_ieee_div_zero 0
		.amdhsa_exception_fp_ieee_overflow 0
		.amdhsa_exception_fp_ieee_underflow 0
		.amdhsa_exception_fp_ieee_inexact 0
		.amdhsa_exception_int_div_zero 0
	.end_amdhsa_kernel
	.section	.text._ZN9rocsolver6v33100L22larf_left_kernel_smallILi256EflPfEEvT1_S3_T2_lS3_lPKT0_lS4_lS3_l,"axG",@progbits,_ZN9rocsolver6v33100L22larf_left_kernel_smallILi256EflPfEEvT1_S3_T2_lS3_lPKT0_lS4_lS3_l,comdat
.Lfunc_end22:
	.size	_ZN9rocsolver6v33100L22larf_left_kernel_smallILi256EflPfEEvT1_S3_T2_lS3_lPKT0_lS4_lS3_l, .Lfunc_end22-_ZN9rocsolver6v33100L22larf_left_kernel_smallILi256EflPfEEvT1_S3_T2_lS3_lPKT0_lS4_lS3_l
                                        ; -- End function
	.set _ZN9rocsolver6v33100L22larf_left_kernel_smallILi256EflPfEEvT1_S3_T2_lS3_lPKT0_lS4_lS3_l.num_vgpr, 44
	.set _ZN9rocsolver6v33100L22larf_left_kernel_smallILi256EflPfEEvT1_S3_T2_lS3_lPKT0_lS4_lS3_l.num_agpr, 0
	.set _ZN9rocsolver6v33100L22larf_left_kernel_smallILi256EflPfEEvT1_S3_T2_lS3_lPKT0_lS4_lS3_l.numbered_sgpr, 50
	.set _ZN9rocsolver6v33100L22larf_left_kernel_smallILi256EflPfEEvT1_S3_T2_lS3_lPKT0_lS4_lS3_l.num_named_barrier, 0
	.set _ZN9rocsolver6v33100L22larf_left_kernel_smallILi256EflPfEEvT1_S3_T2_lS3_lPKT0_lS4_lS3_l.private_seg_size, 0
	.set _ZN9rocsolver6v33100L22larf_left_kernel_smallILi256EflPfEEvT1_S3_T2_lS3_lPKT0_lS4_lS3_l.uses_vcc, 1
	.set _ZN9rocsolver6v33100L22larf_left_kernel_smallILi256EflPfEEvT1_S3_T2_lS3_lPKT0_lS4_lS3_l.uses_flat_scratch, 0
	.set _ZN9rocsolver6v33100L22larf_left_kernel_smallILi256EflPfEEvT1_S3_T2_lS3_lPKT0_lS4_lS3_l.has_dyn_sized_stack, 0
	.set _ZN9rocsolver6v33100L22larf_left_kernel_smallILi256EflPfEEvT1_S3_T2_lS3_lPKT0_lS4_lS3_l.has_recursion, 0
	.set _ZN9rocsolver6v33100L22larf_left_kernel_smallILi256EflPfEEvT1_S3_T2_lS3_lPKT0_lS4_lS3_l.has_indirect_call, 0
	.section	.AMDGPU.csdata,"",@progbits
; Kernel info:
; codeLenInByte = 2016
; TotalNumSgprs: 56
; NumVgprs: 44
; NumAgprs: 0
; TotalNumVgprs: 44
; ScratchSize: 0
; MemoryBound: 0
; FloatMode: 240
; IeeeMode: 1
; LDSByteSize: 9216 bytes/workgroup (compile time only)
; SGPRBlocks: 6
; VGPRBlocks: 5
; NumSGPRsForWavesPerEU: 56
; NumVGPRsForWavesPerEU: 44
; AccumOffset: 44
; Occupancy: 8
; WaveLimiterHint : 1
; COMPUTE_PGM_RSRC2:SCRATCH_EN: 0
; COMPUTE_PGM_RSRC2:USER_SGPR: 2
; COMPUTE_PGM_RSRC2:TRAP_HANDLER: 0
; COMPUTE_PGM_RSRC2:TGID_X_EN: 1
; COMPUTE_PGM_RSRC2:TGID_Y_EN: 1
; COMPUTE_PGM_RSRC2:TGID_Z_EN: 0
; COMPUTE_PGM_RSRC2:TIDIG_COMP_CNT: 0
; COMPUTE_PGM_RSRC3_GFX90A:ACCUM_OFFSET: 10
; COMPUTE_PGM_RSRC3_GFX90A:TG_SPLIT: 0
	.section	.text._ZN9rocsolver6v33100L22larf_left_kernel_smallILi512EflPfEEvT1_S3_T2_lS3_lPKT0_lS4_lS3_l,"axG",@progbits,_ZN9rocsolver6v33100L22larf_left_kernel_smallILi512EflPfEEvT1_S3_T2_lS3_lPKT0_lS4_lS3_l,comdat
	.globl	_ZN9rocsolver6v33100L22larf_left_kernel_smallILi512EflPfEEvT1_S3_T2_lS3_lPKT0_lS4_lS3_l ; -- Begin function _ZN9rocsolver6v33100L22larf_left_kernel_smallILi512EflPfEEvT1_S3_T2_lS3_lPKT0_lS4_lS3_l
	.p2align	8
	.type	_ZN9rocsolver6v33100L22larf_left_kernel_smallILi512EflPfEEvT1_S3_T2_lS3_lPKT0_lS4_lS3_l,@function
_ZN9rocsolver6v33100L22larf_left_kernel_smallILi512EflPfEEvT1_S3_T2_lS3_lPKT0_lS4_lS3_l: ; @_ZN9rocsolver6v33100L22larf_left_kernel_smallILi512EflPfEEvT1_S3_T2_lS3_lPKT0_lS4_lS3_l
; %bb.0:
	s_load_dwordx16 s[16:31], s[0:1], 0x0
	s_mov_b32 s14, s3
	s_mov_b64 s[6:7], 0
	s_waitcnt lgkmcnt(0)
	v_cmp_gt_i64_e64 s[4:5], s[24:25], 0
	s_and_b64 vcc, exec, s[4:5]
	s_cbranch_vccnz .LBB23_2
; %bb.1:
	s_sub_u32 s3, 1, s16
	s_subb_u32 s4, 0, s17
	s_mul_i32 s4, s24, s4
	s_mul_hi_u32 s5, s24, s3
	s_add_i32 s4, s5, s4
	s_mul_i32 s5, s25, s3
	s_add_i32 s7, s4, s5
	s_mul_i32 s6, s24, s3
.LBB23_2:
	v_mov_b32_e32 v1, 0
	s_mov_b32 s15, 0
	v_cmp_gt_i64_e64 s[12:13], s[16:17], v[0:1]
	v_not_b32_e32 v2, v0
	s_and_saveexec_b64 s[4:5], s[12:13]
	s_cbranch_execz .LBB23_10
; %bb.3:
	v_mov_b32_e32 v3, -1
	s_mul_i32 s3, s27, s2
	s_mul_hi_u32 s8, s26, s2
	v_lshl_add_u64 v[4:5], s[16:17], 0, v[2:3]
	s_mov_b64 s[10:11], 0x1ff
	s_add_i32 s9, s8, s3
	s_mul_i32 s8, s26, s2
	v_cmp_lt_u64_e32 vcc, s[10:11], v[4:5]
	s_mov_b64 s[26:27], -1
	v_mov_b64_e32 v[8:9], v[0:1]
	s_and_saveexec_b64 s[10:11], vcc
	s_cbranch_execz .LBB23_7
; %bb.4:
	s_lshl_b64 s[26:27], s[8:9], 2
	s_add_u32 s3, s20, s26
	s_addc_u32 s33, s21, s27
	s_lshl_b64 s[26:27], s[22:23], 2
	s_add_u32 s3, s3, s26
	v_lshrrev_b64 v[4:5], 9, v[4:5]
	s_addc_u32 s33, s33, s27
	s_lshl_b64 s[26:27], s[6:7], 2
	v_lshl_add_u64 v[4:5], v[4:5], 0, 1
	s_add_u32 s26, s3, s26
	v_and_b32_e32 v6, -2, v4
	v_mov_b32_e32 v7, v5
	v_mov_b32_e32 v11, 0
	s_addc_u32 s27, s33, s27
	s_mov_b32 s3, s24
	s_mov_b32 s33, s25
	v_or_b32_e32 v8, 0x200, v0
	v_mov_b32_e32 v10, v0
	v_mov_b32_e32 v9, v11
	s_mov_b64 s[34:35], 0
	s_mov_b64 s[36:37], 0x400
	v_mov_b64_e32 v[12:13], v[6:7]
.LBB23_5:                               ; =>This Inner Loop Header: Depth=1
	v_mul_lo_u32 v19, v11, s24
	v_mul_lo_u32 v20, v10, s25
	v_mad_u64_u32 v[16:17], s[38:39], v10, s24, 0
	v_mul_lo_u32 v3, v9, s3
	v_mul_lo_u32 v18, v8, s33
	v_mad_u64_u32 v[14:15], s[38:39], v8, s3, 0
	v_add3_u32 v17, v17, v20, v19
	v_add3_u32 v15, v15, v18, v3
	v_lshl_add_u64 v[16:17], v[16:17], 2, s[26:27]
	v_lshl_add_u64 v[14:15], v[14:15], 2, s[26:27]
	global_load_dword v3, v[16:17], off
	global_load_dword v18, v[14:15], off
	v_lshl_add_u64 v[12:13], v[12:13], 0, -2
	v_cmp_eq_u64_e32 vcc, 0, v[12:13]
	v_lshlrev_b32_e32 v14, 2, v10
	v_lshlrev_b32_e32 v15, 2, v8
	v_lshl_add_u64 v[8:9], v[8:9], 0, s[36:37]
	v_lshl_add_u64 v[10:11], v[10:11], 0, s[36:37]
	s_or_b64 s[34:35], vcc, s[34:35]
	s_waitcnt vmcnt(1)
	ds_write_b32 v14, v3
	s_waitcnt vmcnt(0)
	ds_write_b32 v15, v18
	s_andn2_b64 exec, exec, s[34:35]
	s_cbranch_execnz .LBB23_5
; %bb.6:
	s_or_b64 exec, exec, s[34:35]
	v_lshlrev_b64 v[8:9], 9, v[6:7]
	v_cmp_ne_u64_e32 vcc, v[4:5], v[6:7]
	v_or_b32_e32 v8, v8, v0
	s_orn2_b64 s[26:27], vcc, exec
.LBB23_7:
	s_or_b64 exec, exec, s[10:11]
	s_and_b64 exec, exec, s[26:27]
	s_cbranch_execz .LBB23_10
; %bb.8:
	v_mad_u64_u32 v[4:5], s[10:11], v8, s24, 0
	s_lshl_b64 s[8:9], s[8:9], 2
	s_lshl_b64 s[6:7], s[6:7], 2
	;; [unrolled: 1-line block ×3, first 2 shown]
	s_add_u32 s3, s20, s10
	s_addc_u32 s10, s21, s11
	s_add_u32 s3, s3, s6
	s_addc_u32 s7, s10, s7
	v_mul_lo_u32 v3, v9, s24
	v_mul_lo_u32 v6, v8, s25
	s_add_u32 s6, s3, s8
	v_add3_u32 v5, v5, v6, v3
	s_addc_u32 s7, s7, s9
	v_lshl_add_u64 v[4:5], v[4:5], 2, s[6:7]
	s_lshl_b64 s[6:7], s[24:25], 11
	v_lshlrev_b32_e32 v3, 2, v8
	s_mov_b64 s[8:9], 0
	s_mov_b64 s[10:11], 0x200
.LBB23_9:                               ; =>This Inner Loop Header: Depth=1
	global_load_dword v6, v[4:5], off
	v_lshl_add_u64 v[8:9], v[8:9], 0, s[10:11]
	v_cmp_le_i64_e32 vcc, s[16:17], v[8:9]
	v_lshl_add_u64 v[4:5], v[4:5], 0, s[6:7]
	s_or_b64 s[8:9], vcc, s[8:9]
	s_waitcnt vmcnt(0)
	ds_write_b32 v3, v6
	v_add_u32_e32 v3, 0x800, v3
	s_andn2_b64 exec, exec, s[8:9]
	s_cbranch_execnz .LBB23_9
.LBB23_10:
	s_or_b64 exec, exec, s[4:5]
	v_mov_b64_e32 v[4:5], s[14:15]
	v_cmp_le_i64_e32 vcc, s[18:19], v[4:5]
	s_waitcnt lgkmcnt(0)
	s_barrier
	s_cbranch_vccnz .LBB23_39
; %bb.11:
	s_load_dwordx8 s[20:27], s[0:1], 0x40
	s_mul_i32 s0, s31, s2
	s_mul_hi_u32 s1, s30, s2
	s_add_i32 s1, s1, s0
	s_mul_i32 s0, s30, s2
	s_waitcnt lgkmcnt(0)
	s_mul_i32 s3, s27, s2
	s_mul_hi_u32 s4, s26, s2
	s_add_i32 s35, s4, s3
	s_lshl_b64 s[0:1], s[0:1], 2
	s_add_u32 s0, s28, s0
	s_addc_u32 s1, s29, s1
	s_cmp_gt_i32 s16, 1
	s_mul_i32 s8, s25, s14
	s_mul_hi_u32 s9, s24, s14
	s_mul_i32 s34, s26, s2
	s_cselect_b64 s[26:27], -1, 0
	s_add_i32 s31, s9, s8
	s_mul_i32 s30, s24, s14
	s_add_u32 s8, s34, s30
	s_addc_u32 s9, s35, s31
	s_add_u32 s8, s8, s22
	v_and_b32_e32 v3, 63, v0
	s_addc_u32 s9, s9, s23
	s_lshl_b64 s[24:25], s[24:25], 8
	s_lshl_b64 s[34:35], s[34:35], 2
	;; [unrolled: 1-line block ×3, first 2 shown]
	v_cmp_eq_u32_e64 s[4:5], 0, v3
	v_mov_b32_e32 v3, -1
	s_add_u32 s30, s34, s30
	v_lshl_add_u64 v[2:3], s[16:17], 0, v[2:3]
	s_addc_u32 s31, s35, s31
	s_lshl_b64 s[22:23], s[22:23], 2
	v_lshl_add_u64 v[4:5], s[8:9], 0, v[0:1]
	v_lshrrev_b64 v[6:7], 9, v[2:3]
	s_mov_b64 s[8:9], 0x600
	s_mov_b32 s10, -1
	s_add_u32 s22, s30, s22
	v_lshl_add_u64 v[6:7], v[6:7], 0, 1
	v_cmp_gt_u64_e64 s[28:29], s[8:9], v[2:3]
	s_mov_b64 s[8:9], 0x5ff
	s_brev_b32 s11, -4
	s_addc_u32 s23, s31, s23
	v_lshl_add_u64 v[10:11], v[4:5], 2, s[20:21]
	v_cmp_lt_u64_e64 s[8:9], s[8:9], v[2:3]
	v_lshlrev_b64 v[12:13], 2, v[2:3]
	v_cmp_lt_u64_e32 vcc, s[10:11], v[2:3]
	v_and_b32_e32 v14, -2, v6
	v_mov_b32_e32 v15, v7
	v_mov_b32_e32 v3, 0
	s_add_u32 s20, s20, s22
	v_lshlrev_b64 v[16:17], 9, v[14:15]
	v_cmp_ne_u64_e64 s[10:11], v[6:7], v[14:15]
	v_lshlrev_b32_e32 v18, 2, v0
	v_mov_b32_e32 v19, v3
	s_addc_u32 s21, s21, s23
	v_mbcnt_lo_u32_b32 v6, -1, 0
	v_or_b32_e32 v16, v16, v0
	v_lshl_add_u64 v[20:21], s[20:21], 0, v[18:19]
	s_mov_b64 s[22:23], 0x800
	v_mbcnt_hi_u32_b32 v39, -1, v6
	v_mov_b32_e32 v6, 0x80
	v_cmp_gt_i32_e64 s[2:3], s16, v0
	v_lshrrev_b32_e32 v34, 4, v0
	v_cmp_eq_u32_e64 s[6:7], 0, v0
	v_and_b32_e32 v12, 0xfffff800, v12
	v_or_b32_e32 v4, 0x200, v0
	v_mov_b32_e32 v2, v0
	v_mov_b32_e32 v5, v3
	v_lshlrev_b32_e32 v35, 2, v0
	v_lshl_add_u64 v[22:23], v[20:21], 0, s[22:23]
	s_mov_b64 s[30:31], 0
	v_mov_b32_e32 v36, 0x2004
	v_mov_b32_e32 v37, 0x200c
	;; [unrolled: 1-line block ×3, first 2 shown]
	s_mov_b64 s[34:35], 0x400
	s_mov_b64 s[36:37], 0x1000
	v_lshlrev_b64 v[24:25], 2, v[16:17]
	s_mov_b64 s[38:39], 0x200
	v_and_b32_e32 v40, 63, v39
	v_lshl_or_b32 v41, v39, 2, v6
	s_xor_b64 s[40:41], vcc, -1
	v_mov_b64_e32 v[26:27], s[18:19]
	s_branch .LBB23_13
.LBB23_12:                              ;   in Loop: Header=BB23_13 Depth=1
	s_or_b64 exec, exec, s[18:19]
	s_add_u32 s14, s14, 64
	s_addc_u32 s15, s15, 0
	s_add_u32 s30, s30, 1
	s_addc_u32 s31, s31, 0
	s_add_u32 s20, s20, s24
	v_cmp_ge_i64_e32 vcc, s[14:15], v[26:27]
	v_lshl_add_u64 v[20:21], v[20:21], 0, s[24:25]
	v_lshl_add_u64 v[22:23], v[22:23], 0, s[24:25]
	s_addc_u32 s21, s21, s25
	s_cbranch_vccnz .LBB23_39
.LBB23_13:                              ; =>This Loop Header: Depth=1
                                        ;     Child Loop BB23_15 Depth 2
                                        ;     Child Loop BB23_31 Depth 2
	;; [unrolled: 1-line block ×3, first 2 shown]
	v_mov_b32_e32 v8, 0
	s_and_saveexec_b64 s[18:19], s[2:3]
	s_cbranch_execz .LBB23_17
; %bb.14:                               ;   in Loop: Header=BB23_13 Depth=1
	v_mov_b32_e32 v8, 0
	s_mov_b64 s[42:43], 0
	v_mov_b64_e32 v[6:7], v[20:21]
	v_mov_b32_e32 v9, v35
	v_mov_b32_e32 v28, v0
.LBB23_15:                              ;   Parent Loop BB23_13 Depth=1
                                        ; =>  This Inner Loop Header: Depth=2
	global_load_dword v29, v[6:7], off
	ds_read_b32 v30, v9
	v_add_u32_e32 v28, 0x200, v28
	v_cmp_le_i32_e32 vcc, s16, v28
	v_add_u32_e32 v9, 0x800, v9
	v_lshl_add_u64 v[6:7], v[6:7], 0, s[22:23]
	s_or_b64 s[42:43], vcc, s[42:43]
	s_waitcnt vmcnt(0) lgkmcnt(0)
	v_fmac_f32_e32 v8, v30, v29
	s_andn2_b64 exec, exec, s[42:43]
	s_cbranch_execnz .LBB23_15
; %bb.16:                               ;   in Loop: Header=BB23_13 Depth=1
	s_or_b64 exec, exec, s[42:43]
.LBB23_17:                              ;   in Loop: Header=BB23_13 Depth=1
	s_or_b64 exec, exec, s[18:19]
	s_and_b64 vcc, exec, s[26:27]
	s_cbranch_vccz .LBB23_24
; %bb.18:                               ;   in Loop: Header=BB23_13 Depth=1
	v_cmp_ne_u32_e32 vcc, 63, v40
	s_nop 1
	v_addc_co_u32_e32 v6, vcc, 0, v39, vcc
	v_lshlrev_b32_e32 v6, 2, v6
	ds_bpermute_b32 v6, v6, v8
	v_cmp_gt_u32_e32 vcc, 62, v40
	s_waitcnt lgkmcnt(0)
	v_add_f32_e32 v6, v8, v6
	v_cndmask_b32_e64 v7, 0, 2, vcc
	v_add_lshl_u32 v7, v7, v39, 2
	ds_bpermute_b32 v7, v7, v6
	v_cmp_gt_u32_e32 vcc, 60, v40
	s_waitcnt lgkmcnt(0)
	v_add_f32_e32 v6, v6, v7
	v_cndmask_b32_e64 v9, 0, 4, vcc
	v_add_lshl_u32 v9, v9, v39, 2
	;; [unrolled: 6-line block ×4, first 2 shown]
	ds_bpermute_b32 v7, v7, v6
	s_waitcnt lgkmcnt(0)
	v_add_f32_e32 v6, v6, v7
	ds_bpermute_b32 v7, v41, v6
	s_waitcnt lgkmcnt(0)
	v_add_f32_e32 v6, v6, v7
	s_and_saveexec_b64 s[18:19], s[4:5]
; %bb.19:                               ;   in Loop: Header=BB23_13 Depth=1
	ds_write_b32 v34, v6 offset:8192
; %bb.20:                               ;   in Loop: Header=BB23_13 Depth=1
	s_or_b64 exec, exec, s[18:19]
	s_mov_b64 s[42:43], 0
	s_mov_b64 s[18:19], 0
	s_waitcnt lgkmcnt(0)
	s_barrier
                                        ; implicit-def: $vgpr7
	s_and_saveexec_b64 s[44:45], s[6:7]
	s_xor_b64 s[44:45], exec, s[44:45]
	s_cbranch_execz .LBB23_22
; %bb.21:                               ;   in Loop: Header=BB23_13 Depth=1
	ds_read2_b32 v[28:29], v36 offset1:1
	ds_read2_b32 v[30:31], v37 offset1:1
	;; [unrolled: 1-line block ×3, first 2 shown]
	ds_read_b32 v7, v3 offset:8220
	s_mov_b64 s[18:19], exec
	s_waitcnt lgkmcnt(3)
	v_add_f32_e32 v6, v6, v28
	v_add_f32_e32 v6, v6, v29
	s_waitcnt lgkmcnt(2)
	v_add_f32_e32 v6, v6, v30
	v_add_f32_e32 v6, v6, v31
	;; [unrolled: 3-line block ×3, first 2 shown]
	s_waitcnt lgkmcnt(0)
	v_add_f32_e32 v7, v6, v7
.LBB23_22:                              ;   in Loop: Header=BB23_13 Depth=1
	s_or_b64 exec, exec, s[44:45]
	s_and_b64 vcc, exec, s[42:43]
	s_cbranch_vccnz .LBB23_25
.LBB23_23:                              ;   in Loop: Header=BB23_13 Depth=1
	v_mov_b32_e32 v8, v7
	s_and_saveexec_b64 s[42:43], s[18:19]
	s_cbranch_execnz .LBB23_26
	s_branch .LBB23_27
.LBB23_24:                              ;   in Loop: Header=BB23_13 Depth=1
	s_mov_b64 s[18:19], 0
                                        ; implicit-def: $vgpr7
	s_cbranch_execz .LBB23_23
.LBB23_25:                              ;   in Loop: Header=BB23_13 Depth=1
	s_andn2_b64 s[18:19], s[18:19], exec
	s_and_b64 s[42:43], s[6:7], exec
	s_or_b64 s[18:19], s[18:19], s[42:43]
	s_and_saveexec_b64 s[42:43], s[18:19]
.LBB23_26:                              ;   in Loop: Header=BB23_13 Depth=1
	ds_write_b32 v3, v8 offset:8192
.LBB23_27:                              ;   in Loop: Header=BB23_13 Depth=1
	s_or_b64 exec, exec, s[42:43]
	s_waitcnt lgkmcnt(0)
	s_barrier
	s_and_saveexec_b64 s[18:19], s[12:13]
	s_cbranch_execz .LBB23_12
; %bb.28:                               ;   in Loop: Header=BB23_13 Depth=1
	global_load_dword v8, v3, s[0:1]
	ds_read_b32 v9, v3 offset:8192
	s_mov_b64 s[44:45], s[28:29]
	v_mov_b64_e32 v[6:7], v[0:1]
	s_waitcnt vmcnt(0) lgkmcnt(0)
	v_mul_f32_e64 v28, v9, -v8
	v_mov_b64_e32 v[8:9], v[18:19]
	s_and_saveexec_b64 s[42:43], s[8:9]
	s_cbranch_execz .LBB23_36
; %bb.29:                               ;   in Loop: Header=BB23_13 Depth=1
	s_mul_i32 s33, s25, s30
	s_mul_i32 s44, s24, s31
	v_mov_b32_e32 v6, s30
	s_add_i32 s33, s44, s33
	v_mad_u64_u32 v[6:7], s[44:45], s24, v6, v[10:11]
	v_add_u32_e32 v7, s33, v7
	v_lshl_add_u64 v[8:9], v[6:7], 0, v[12:13]
	v_cmp_ge_u64_e32 vcc, v[8:9], v[6:7]
	s_mov_b64 s[46:47], -1
	s_and_b64 s[48:49], vcc, s[40:41]
	v_mov_b64_e32 v[6:7], v[0:1]
	v_mov_b64_e32 v[8:9], v[18:19]
	s_and_saveexec_b64 s[44:45], s[48:49]
	s_cbranch_execz .LBB23_35
; %bb.30:                               ;   in Loop: Header=BB23_13 Depth=1
	v_mov_b64_e32 v[8:9], v[4:5]
	v_mov_b32_e32 v29, v28
	s_mov_b64 s[46:47], 0
	v_mov_b64_e32 v[30:31], v[14:15]
	v_mov_b64_e32 v[32:33], v[22:23]
	;; [unrolled: 1-line block ×3, first 2 shown]
.LBB23_31:                              ;   Parent Loop BB23_13 Depth=1
                                        ; =>  This Inner Loop Header: Depth=2
	global_load_dword v42, v[32:33], off offset:-2048
	global_load_dword v43, v[32:33], off
	v_lshlrev_b32_e32 v44, 2, v6
	v_lshlrev_b32_e32 v45, 2, v8
	ds_read_b32 v44, v44
	ds_read_b32 v45, v45
	v_lshl_add_u64 v[30:31], v[30:31], 0, -2
	v_cmp_eq_u64_e32 vcc, 0, v[30:31]
	v_lshl_add_u64 v[8:9], v[8:9], 0, s[34:35]
	v_lshl_add_u64 v[6:7], v[6:7], 0, s[34:35]
	s_or_b64 s[46:47], vcc, s[46:47]
	s_waitcnt vmcnt(0) lgkmcnt(0)
	v_pk_fma_f32 v[42:43], v[28:29], v[44:45], v[42:43]
	global_store_dword v[32:33], v42, off offset:-2048
	global_store_dword v[32:33], v43, off
	v_lshl_add_u64 v[32:33], v[32:33], 0, s[36:37]
	s_andn2_b64 exec, exec, s[46:47]
	s_cbranch_execnz .LBB23_31
; %bb.32:                               ;   in Loop: Header=BB23_13 Depth=1
	s_or_b64 exec, exec, s[46:47]
	s_mov_b64 s[46:47], 0
	s_and_saveexec_b64 s[48:49], s[10:11]
; %bb.33:                               ;   in Loop: Header=BB23_13 Depth=1
	s_mov_b64 s[46:47], exec
; %bb.34:                               ;   in Loop: Header=BB23_13 Depth=1
	s_or_b64 exec, exec, s[48:49]
	s_orn2_b64 s[46:47], s[46:47], exec
	v_mov_b64_e32 v[6:7], v[16:17]
	v_mov_b64_e32 v[8:9], v[24:25]
.LBB23_35:                              ;   in Loop: Header=BB23_13 Depth=1
	s_or_b64 exec, exec, s[44:45]
	s_andn2_b64 s[44:45], s[28:29], exec
	s_and_b64 s[46:47], s[46:47], exec
	s_or_b64 s[44:45], s[44:45], s[46:47]
.LBB23_36:                              ;   in Loop: Header=BB23_13 Depth=1
	s_or_b64 exec, exec, s[42:43]
	s_and_b64 exec, exec, s[44:45]
	s_cbranch_execz .LBB23_12
; %bb.37:                               ;   in Loop: Header=BB23_13 Depth=1
	v_lshlrev_b32_e32 v29, 2, v6
	v_lshl_add_u64 v[8:9], s[20:21], 0, v[8:9]
	s_mov_b64 s[42:43], 0
.LBB23_38:                              ;   Parent Loop BB23_13 Depth=1
                                        ; =>  This Inner Loop Header: Depth=2
	global_load_dword v30, v[8:9], off
	ds_read_b32 v31, v29
	v_lshl_add_u64 v[6:7], v[6:7], 0, s[38:39]
	v_cmp_le_i64_e32 vcc, s[16:17], v[6:7]
	v_add_u32_e32 v29, 0x800, v29
	s_or_b64 s[42:43], vcc, s[42:43]
	s_waitcnt vmcnt(0) lgkmcnt(0)
	v_fmac_f32_e32 v30, v28, v31
	global_store_dword v[8:9], v30, off
	v_lshl_add_u64 v[8:9], v[8:9], 0, s[22:23]
	s_andn2_b64 exec, exec, s[42:43]
	s_cbranch_execnz .LBB23_38
	s_branch .LBB23_12
.LBB23_39:
	s_endpgm
	.section	.rodata,"a",@progbits
	.p2align	6, 0x0
	.amdhsa_kernel _ZN9rocsolver6v33100L22larf_left_kernel_smallILi512EflPfEEvT1_S3_T2_lS3_lPKT0_lS4_lS3_l
		.amdhsa_group_segment_fixed_size 10240
		.amdhsa_private_segment_fixed_size 0
		.amdhsa_kernarg_size 96
		.amdhsa_user_sgpr_count 2
		.amdhsa_user_sgpr_dispatch_ptr 0
		.amdhsa_user_sgpr_queue_ptr 0
		.amdhsa_user_sgpr_kernarg_segment_ptr 1
		.amdhsa_user_sgpr_dispatch_id 0
		.amdhsa_user_sgpr_kernarg_preload_length 0
		.amdhsa_user_sgpr_kernarg_preload_offset 0
		.amdhsa_user_sgpr_private_segment_size 0
		.amdhsa_uses_dynamic_stack 0
		.amdhsa_enable_private_segment 0
		.amdhsa_system_sgpr_workgroup_id_x 1
		.amdhsa_system_sgpr_workgroup_id_y 1
		.amdhsa_system_sgpr_workgroup_id_z 0
		.amdhsa_system_sgpr_workgroup_info 0
		.amdhsa_system_vgpr_workitem_id 0
		.amdhsa_next_free_vgpr 46
		.amdhsa_next_free_sgpr 50
		.amdhsa_accum_offset 48
		.amdhsa_reserve_vcc 1
		.amdhsa_float_round_mode_32 0
		.amdhsa_float_round_mode_16_64 0
		.amdhsa_float_denorm_mode_32 3
		.amdhsa_float_denorm_mode_16_64 3
		.amdhsa_dx10_clamp 1
		.amdhsa_ieee_mode 1
		.amdhsa_fp16_overflow 0
		.amdhsa_tg_split 0
		.amdhsa_exception_fp_ieee_invalid_op 0
		.amdhsa_exception_fp_denorm_src 0
		.amdhsa_exception_fp_ieee_div_zero 0
		.amdhsa_exception_fp_ieee_overflow 0
		.amdhsa_exception_fp_ieee_underflow 0
		.amdhsa_exception_fp_ieee_inexact 0
		.amdhsa_exception_int_div_zero 0
	.end_amdhsa_kernel
	.section	.text._ZN9rocsolver6v33100L22larf_left_kernel_smallILi512EflPfEEvT1_S3_T2_lS3_lPKT0_lS4_lS3_l,"axG",@progbits,_ZN9rocsolver6v33100L22larf_left_kernel_smallILi512EflPfEEvT1_S3_T2_lS3_lPKT0_lS4_lS3_l,comdat
.Lfunc_end23:
	.size	_ZN9rocsolver6v33100L22larf_left_kernel_smallILi512EflPfEEvT1_S3_T2_lS3_lPKT0_lS4_lS3_l, .Lfunc_end23-_ZN9rocsolver6v33100L22larf_left_kernel_smallILi512EflPfEEvT1_S3_T2_lS3_lPKT0_lS4_lS3_l
                                        ; -- End function
	.set _ZN9rocsolver6v33100L22larf_left_kernel_smallILi512EflPfEEvT1_S3_T2_lS3_lPKT0_lS4_lS3_l.num_vgpr, 46
	.set _ZN9rocsolver6v33100L22larf_left_kernel_smallILi512EflPfEEvT1_S3_T2_lS3_lPKT0_lS4_lS3_l.num_agpr, 0
	.set _ZN9rocsolver6v33100L22larf_left_kernel_smallILi512EflPfEEvT1_S3_T2_lS3_lPKT0_lS4_lS3_l.numbered_sgpr, 50
	.set _ZN9rocsolver6v33100L22larf_left_kernel_smallILi512EflPfEEvT1_S3_T2_lS3_lPKT0_lS4_lS3_l.num_named_barrier, 0
	.set _ZN9rocsolver6v33100L22larf_left_kernel_smallILi512EflPfEEvT1_S3_T2_lS3_lPKT0_lS4_lS3_l.private_seg_size, 0
	.set _ZN9rocsolver6v33100L22larf_left_kernel_smallILi512EflPfEEvT1_S3_T2_lS3_lPKT0_lS4_lS3_l.uses_vcc, 1
	.set _ZN9rocsolver6v33100L22larf_left_kernel_smallILi512EflPfEEvT1_S3_T2_lS3_lPKT0_lS4_lS3_l.uses_flat_scratch, 0
	.set _ZN9rocsolver6v33100L22larf_left_kernel_smallILi512EflPfEEvT1_S3_T2_lS3_lPKT0_lS4_lS3_l.has_dyn_sized_stack, 0
	.set _ZN9rocsolver6v33100L22larf_left_kernel_smallILi512EflPfEEvT1_S3_T2_lS3_lPKT0_lS4_lS3_l.has_recursion, 0
	.set _ZN9rocsolver6v33100L22larf_left_kernel_smallILi512EflPfEEvT1_S3_T2_lS3_lPKT0_lS4_lS3_l.has_indirect_call, 0
	.section	.AMDGPU.csdata,"",@progbits
; Kernel info:
; codeLenInByte = 2072
; TotalNumSgprs: 56
; NumVgprs: 46
; NumAgprs: 0
; TotalNumVgprs: 46
; ScratchSize: 0
; MemoryBound: 0
; FloatMode: 240
; IeeeMode: 1
; LDSByteSize: 10240 bytes/workgroup (compile time only)
; SGPRBlocks: 6
; VGPRBlocks: 5
; NumSGPRsForWavesPerEU: 56
; NumVGPRsForWavesPerEU: 46
; AccumOffset: 48
; Occupancy: 8
; WaveLimiterHint : 1
; COMPUTE_PGM_RSRC2:SCRATCH_EN: 0
; COMPUTE_PGM_RSRC2:USER_SGPR: 2
; COMPUTE_PGM_RSRC2:TRAP_HANDLER: 0
; COMPUTE_PGM_RSRC2:TGID_X_EN: 1
; COMPUTE_PGM_RSRC2:TGID_Y_EN: 1
; COMPUTE_PGM_RSRC2:TGID_Z_EN: 0
; COMPUTE_PGM_RSRC2:TIDIG_COMP_CNT: 0
; COMPUTE_PGM_RSRC3_GFX90A:ACCUM_OFFSET: 11
; COMPUTE_PGM_RSRC3_GFX90A:TG_SPLIT: 0
	.section	.text._ZN9rocsolver6v33100L22larf_left_kernel_smallILi1024EflPfEEvT1_S3_T2_lS3_lPKT0_lS4_lS3_l,"axG",@progbits,_ZN9rocsolver6v33100L22larf_left_kernel_smallILi1024EflPfEEvT1_S3_T2_lS3_lPKT0_lS4_lS3_l,comdat
	.globl	_ZN9rocsolver6v33100L22larf_left_kernel_smallILi1024EflPfEEvT1_S3_T2_lS3_lPKT0_lS4_lS3_l ; -- Begin function _ZN9rocsolver6v33100L22larf_left_kernel_smallILi1024EflPfEEvT1_S3_T2_lS3_lPKT0_lS4_lS3_l
	.p2align	8
	.type	_ZN9rocsolver6v33100L22larf_left_kernel_smallILi1024EflPfEEvT1_S3_T2_lS3_lPKT0_lS4_lS3_l,@function
_ZN9rocsolver6v33100L22larf_left_kernel_smallILi1024EflPfEEvT1_S3_T2_lS3_lPKT0_lS4_lS3_l: ; @_ZN9rocsolver6v33100L22larf_left_kernel_smallILi1024EflPfEEvT1_S3_T2_lS3_lPKT0_lS4_lS3_l
; %bb.0:
	s_load_dwordx16 s[16:31], s[0:1], 0x0
	s_mov_b32 s14, s3
	s_mov_b64 s[6:7], 0
	s_waitcnt lgkmcnt(0)
	v_cmp_gt_i64_e64 s[4:5], s[24:25], 0
	s_and_b64 vcc, exec, s[4:5]
	s_cbranch_vccnz .LBB24_2
; %bb.1:
	s_sub_u32 s3, 1, s16
	s_subb_u32 s4, 0, s17
	s_mul_i32 s4, s24, s4
	s_mul_hi_u32 s5, s24, s3
	s_add_i32 s4, s5, s4
	s_mul_i32 s5, s25, s3
	s_add_i32 s7, s4, s5
	s_mul_i32 s6, s24, s3
.LBB24_2:
	v_mov_b32_e32 v1, 0
	s_mov_b32 s15, 0
	v_cmp_gt_i64_e64 s[12:13], s[16:17], v[0:1]
	v_not_b32_e32 v6, v0
	s_and_saveexec_b64 s[4:5], s[12:13]
	s_cbranch_execz .LBB24_10
; %bb.3:
	v_mov_b32_e32 v7, -1
	s_mul_i32 s3, s27, s2
	s_mul_hi_u32 s8, s26, s2
	v_lshl_add_u64 v[4:5], s[16:17], 0, v[6:7]
	s_mov_b64 s[10:11], 0x3ff
	s_add_i32 s9, s8, s3
	s_mul_i32 s8, s26, s2
	v_cmp_lt_u64_e32 vcc, s[10:11], v[4:5]
	s_mov_b64 s[26:27], -1
	v_mov_b64_e32 v[2:3], v[0:1]
	s_and_saveexec_b64 s[10:11], vcc
	s_cbranch_execz .LBB24_7
; %bb.4:
	s_lshl_b64 s[26:27], s[8:9], 2
	s_add_u32 s3, s20, s26
	s_addc_u32 s33, s21, s27
	s_lshl_b64 s[26:27], s[22:23], 2
	s_add_u32 s3, s3, s26
	v_lshrrev_b64 v[2:3], 10, v[4:5]
	s_addc_u32 s33, s33, s27
	s_lshl_b64 s[26:27], s[6:7], 2
	v_lshl_add_u64 v[8:9], v[2:3], 0, 1
	v_or_b32_e32 v2, 0x400, v0
	v_mov_b32_e32 v3, v1
	s_add_u32 s26, s3, s26
	v_and_b32_e32 v10, -2, v8
	v_mov_b32_e32 v11, v9
	v_mov_b64_e32 v[4:5], v[2:3]
	s_addc_u32 s27, s33, s27
	s_mov_b32 s3, s24
	s_mov_b32 s33, s25
	s_mov_b64 s[34:35], 0
	s_mov_b64 s[36:37], 0x800
	v_mov_b64_e32 v[12:13], v[10:11]
	v_mov_b64_e32 v[2:3], v[0:1]
.LBB24_5:                               ; =>This Inner Loop Header: Depth=1
	v_mul_lo_u32 v19, v3, s24
	v_mul_lo_u32 v20, v2, s25
	v_mad_u64_u32 v[16:17], s[38:39], v2, s24, 0
	v_mul_lo_u32 v7, v5, s3
	v_mul_lo_u32 v18, v4, s33
	v_mad_u64_u32 v[14:15], s[38:39], v4, s3, 0
	v_add3_u32 v17, v17, v20, v19
	v_add3_u32 v15, v15, v18, v7
	v_lshl_add_u64 v[16:17], v[16:17], 2, s[26:27]
	v_lshl_add_u64 v[14:15], v[14:15], 2, s[26:27]
	global_load_dword v7, v[16:17], off
	global_load_dword v18, v[14:15], off
	v_lshl_add_u64 v[12:13], v[12:13], 0, -2
	v_cmp_eq_u64_e32 vcc, 0, v[12:13]
	v_lshlrev_b32_e32 v14, 2, v2
	v_lshlrev_b32_e32 v15, 2, v4
	v_lshl_add_u64 v[4:5], v[4:5], 0, s[36:37]
	v_lshl_add_u64 v[2:3], v[2:3], 0, s[36:37]
	s_or_b64 s[34:35], vcc, s[34:35]
	s_waitcnt vmcnt(1)
	ds_write_b32 v14, v7
	s_waitcnt vmcnt(0)
	ds_write_b32 v15, v18
	s_andn2_b64 exec, exec, s[34:35]
	s_cbranch_execnz .LBB24_5
; %bb.6:
	s_or_b64 exec, exec, s[34:35]
	v_lshlrev_b64 v[2:3], 10, v[10:11]
	v_cmp_ne_u64_e32 vcc, v[8:9], v[10:11]
	v_or_b32_e32 v2, v2, v0
	s_orn2_b64 s[26:27], vcc, exec
.LBB24_7:
	s_or_b64 exec, exec, s[10:11]
	s_and_b64 exec, exec, s[26:27]
	s_cbranch_execz .LBB24_10
; %bb.8:
	v_mad_u64_u32 v[4:5], s[10:11], v2, s24, 0
	s_lshl_b64 s[8:9], s[8:9], 2
	s_lshl_b64 s[6:7], s[6:7], 2
	;; [unrolled: 1-line block ×3, first 2 shown]
	s_add_u32 s3, s20, s10
	s_addc_u32 s10, s21, s11
	s_add_u32 s3, s3, s6
	s_addc_u32 s7, s10, s7
	v_mul_lo_u32 v7, v3, s24
	v_mul_lo_u32 v8, v2, s25
	s_add_u32 s6, s3, s8
	v_add3_u32 v5, v5, v8, v7
	s_addc_u32 s7, s7, s9
	v_lshl_add_u64 v[4:5], v[4:5], 2, s[6:7]
	s_lshl_b64 s[6:7], s[24:25], 12
	v_lshlrev_b32_e32 v7, 2, v2
	s_mov_b64 s[8:9], 0
	s_mov_b64 s[10:11], 0x400
.LBB24_9:                               ; =>This Inner Loop Header: Depth=1
	global_load_dword v8, v[4:5], off
	v_lshl_add_u64 v[2:3], v[2:3], 0, s[10:11]
	v_cmp_le_i64_e32 vcc, s[16:17], v[2:3]
	v_lshl_add_u64 v[4:5], v[4:5], 0, s[6:7]
	s_or_b64 s[8:9], vcc, s[8:9]
	s_waitcnt vmcnt(0)
	ds_write_b32 v7, v8
	v_add_u32_e32 v7, 0x1000, v7
	s_andn2_b64 exec, exec, s[8:9]
	s_cbranch_execnz .LBB24_9
.LBB24_10:
	s_or_b64 exec, exec, s[4:5]
	v_mov_b64_e32 v[2:3], s[14:15]
	v_cmp_le_i64_e32 vcc, s[18:19], v[2:3]
	s_waitcnt lgkmcnt(0)
	s_barrier
	s_cbranch_vccnz .LBB24_39
; %bb.11:
	s_load_dwordx8 s[20:27], s[0:1], 0x40
	s_mul_i32 s0, s31, s2
	s_mul_hi_u32 s1, s30, s2
	s_add_i32 s1, s1, s0
	s_mul_i32 s0, s30, s2
	s_waitcnt lgkmcnt(0)
	s_mul_i32 s3, s27, s2
	s_mul_hi_u32 s4, s26, s2
	s_add_i32 s35, s4, s3
	s_lshl_b64 s[0:1], s[0:1], 2
	s_add_u32 s0, s28, s0
	s_addc_u32 s1, s29, s1
	s_cmp_gt_i32 s16, 1
	s_mul_i32 s8, s25, s14
	s_mul_hi_u32 s9, s24, s14
	s_mul_i32 s34, s26, s2
	s_cselect_b64 s[26:27], -1, 0
	s_add_i32 s31, s9, s8
	s_mul_i32 s30, s24, s14
	s_add_u32 s8, s34, s30
	s_addc_u32 s9, s35, s31
	s_add_u32 s8, s8, s22
	s_addc_u32 s9, s9, s23
	s_lshl_b64 s[24:25], s[24:25], 8
	s_lshl_b64 s[34:35], s[34:35], 2
	s_lshl_b64 s[30:31], s[30:31], 2
	v_and_b32_e32 v2, 63, v0
	v_mov_b32_e32 v7, -1
	s_add_u32 s30, s34, s30
	v_cmp_eq_u32_e64 s[4:5], 0, v2
	v_lshl_add_u64 v[2:3], s[16:17], 0, v[6:7]
	s_addc_u32 s31, s35, s31
	s_lshl_b64 s[22:23], s[22:23], 2
	v_lshrrev_b64 v[6:7], 10, v[2:3]
	s_add_u32 s22, s30, s22
	v_lshl_add_u64 v[4:5], s[8:9], 0, v[0:1]
	v_lshl_add_u64 v[6:7], v[6:7], 0, 1
	s_addc_u32 s23, s31, s23
	v_lshl_add_u64 v[8:9], v[4:5], 2, s[20:21]
	s_mov_b32 s10, -1
	v_and_b32_e32 v12, -2, v6
	v_mov_b32_e32 v13, v7
	s_add_u32 s20, s20, s22
	s_mov_b64 s[8:9], 0xc00
	s_brev_b32 s11, -4
	v_lshlrev_b64 v[14:15], 10, v[12:13]
	v_lshlrev_b32_e32 v16, 2, v0
	v_mov_b32_e32 v17, 0
	s_addc_u32 s21, s21, s23
	v_mbcnt_lo_u32_b32 v4, -1, 0
	v_cmp_gt_u64_e64 s[28:29], s[8:9], v[2:3]
	s_mov_b64 s[8:9], 0xbff
	v_lshlrev_b64 v[10:11], 2, v[2:3]
	v_cmp_lt_u64_e32 vcc, s[10:11], v[2:3]
	v_or_b32_e32 v14, v14, v0
	v_lshl_add_u64 v[18:19], s[20:21], 0, v[16:17]
	s_mov_b64 s[22:23], 0x1000
	v_mbcnt_hi_u32_b32 v41, -1, v4
	v_mov_b32_e32 v4, 0x80
	v_cmp_gt_i32_e64 s[2:3], s16, v0
	v_lshrrev_b32_e32 v32, 4, v0
	v_cmp_eq_u32_e64 s[6:7], 0, v0
	v_cmp_lt_u64_e64 s[8:9], s[8:9], v[2:3]
	v_and_b32_e32 v10, 0xfffff000, v10
	v_or_b32_e32 v2, 0x400, v0
	v_mov_b32_e32 v3, v1
	v_cmp_ne_u64_e64 s[10:11], v[6:7], v[12:13]
	v_lshlrev_b32_e32 v33, 2, v0
	v_lshl_add_u64 v[20:21], v[18:19], 0, s[22:23]
	s_mov_b64 s[30:31], 0
	v_mov_b32_e32 v34, 0x2004
	v_mov_b32_e32 v35, 0x200c
	;; [unrolled: 1-line block ×7, first 2 shown]
	s_mov_b64 s[34:35], 0x800
	s_mov_b64 s[36:37], 0x2000
	v_lshlrev_b64 v[22:23], 2, v[14:15]
	s_mov_b64 s[38:39], 0x400
	v_and_b32_e32 v42, 63, v41
	v_lshl_or_b32 v43, v41, 2, v4
	s_xor_b64 s[40:41], vcc, -1
	v_mov_b64_e32 v[24:25], s[18:19]
	s_branch .LBB24_13
.LBB24_12:                              ;   in Loop: Header=BB24_13 Depth=1
	s_or_b64 exec, exec, s[18:19]
	s_add_u32 s14, s14, 64
	s_addc_u32 s15, s15, 0
	s_add_u32 s30, s30, 1
	s_addc_u32 s31, s31, 0
	s_add_u32 s20, s20, s24
	v_cmp_ge_i64_e32 vcc, s[14:15], v[24:25]
	v_lshl_add_u64 v[18:19], v[18:19], 0, s[24:25]
	v_lshl_add_u64 v[20:21], v[20:21], 0, s[24:25]
	s_addc_u32 s21, s21, s25
	s_cbranch_vccnz .LBB24_39
.LBB24_13:                              ; =>This Loop Header: Depth=1
                                        ;     Child Loop BB24_15 Depth 2
                                        ;     Child Loop BB24_31 Depth 2
	;; [unrolled: 1-line block ×3, first 2 shown]
	v_mov_b32_e32 v6, 0
	s_and_saveexec_b64 s[18:19], s[2:3]
	s_cbranch_execz .LBB24_17
; %bb.14:                               ;   in Loop: Header=BB24_13 Depth=1
	v_mov_b32_e32 v6, 0
	s_mov_b64 s[42:43], 0
	v_mov_b64_e32 v[4:5], v[18:19]
	v_mov_b32_e32 v7, v33
	v_mov_b32_e32 v26, v0
.LBB24_15:                              ;   Parent Loop BB24_13 Depth=1
                                        ; =>  This Inner Loop Header: Depth=2
	global_load_dword v27, v[4:5], off
	ds_read_b32 v28, v7
	v_add_u32_e32 v26, 0x400, v26
	v_cmp_le_i32_e32 vcc, s16, v26
	v_add_u32_e32 v7, 0x1000, v7
	v_lshl_add_u64 v[4:5], v[4:5], 0, s[22:23]
	s_or_b64 s[42:43], vcc, s[42:43]
	s_waitcnt vmcnt(0) lgkmcnt(0)
	v_fmac_f32_e32 v6, v28, v27
	s_andn2_b64 exec, exec, s[42:43]
	s_cbranch_execnz .LBB24_15
; %bb.16:                               ;   in Loop: Header=BB24_13 Depth=1
	s_or_b64 exec, exec, s[42:43]
.LBB24_17:                              ;   in Loop: Header=BB24_13 Depth=1
	s_or_b64 exec, exec, s[18:19]
	s_and_b64 vcc, exec, s[26:27]
	s_cbranch_vccz .LBB24_24
; %bb.18:                               ;   in Loop: Header=BB24_13 Depth=1
	v_cmp_ne_u32_e32 vcc, 63, v42
	s_nop 1
	v_addc_co_u32_e32 v4, vcc, 0, v41, vcc
	v_lshlrev_b32_e32 v4, 2, v4
	ds_bpermute_b32 v4, v4, v6
	v_cmp_gt_u32_e32 vcc, 62, v42
	s_waitcnt lgkmcnt(0)
	v_add_f32_e32 v4, v6, v4
	v_cndmask_b32_e64 v5, 0, 2, vcc
	v_add_lshl_u32 v5, v5, v41, 2
	ds_bpermute_b32 v5, v5, v4
	v_cmp_gt_u32_e32 vcc, 60, v42
	s_waitcnt lgkmcnt(0)
	v_add_f32_e32 v4, v4, v5
	v_cndmask_b32_e64 v7, 0, 4, vcc
	v_add_lshl_u32 v7, v7, v41, 2
	;; [unrolled: 6-line block ×4, first 2 shown]
	ds_bpermute_b32 v5, v5, v4
	s_waitcnt lgkmcnt(0)
	v_add_f32_e32 v4, v4, v5
	ds_bpermute_b32 v5, v43, v4
	s_waitcnt lgkmcnt(0)
	v_add_f32_e32 v4, v4, v5
	s_and_saveexec_b64 s[18:19], s[4:5]
; %bb.19:                               ;   in Loop: Header=BB24_13 Depth=1
	ds_write_b32 v32, v4 offset:8192
; %bb.20:                               ;   in Loop: Header=BB24_13 Depth=1
	s_or_b64 exec, exec, s[18:19]
	s_mov_b64 s[42:43], 0
	s_mov_b64 s[18:19], 0
	s_waitcnt lgkmcnt(0)
	s_barrier
                                        ; implicit-def: $vgpr5
	s_and_saveexec_b64 s[44:45], s[6:7]
	s_xor_b64 s[44:45], exec, s[44:45]
	s_cbranch_execz .LBB24_22
; %bb.21:                               ;   in Loop: Header=BB24_13 Depth=1
	ds_read2_b32 v[26:27], v34 offset1:1
	ds_read2_b32 v[28:29], v35 offset1:1
	;; [unrolled: 1-line block ×4, first 2 shown]
	s_mov_b64 s[18:19], exec
	s_waitcnt lgkmcnt(3)
	v_add_f32_e32 v4, v4, v26
	v_add_f32_e32 v4, v4, v27
	s_waitcnt lgkmcnt(2)
	v_add_f32_e32 v4, v4, v28
	v_add_f32_e32 v4, v4, v29
	;; [unrolled: 3-line block ×3, first 2 shown]
	s_waitcnt lgkmcnt(0)
	v_add_f32_e32 v7, v4, v44
	ds_read2_b32 v[4:5], v38 offset1:1
	v_add_f32_e32 v7, v7, v45
	ds_read2_b32 v[26:27], v39 offset1:1
	ds_read2_b32 v[28:29], v40 offset1:1
	ds_read_b32 v30, v17 offset:8252
	s_waitcnt lgkmcnt(3)
	v_add_f32_e32 v4, v7, v4
	v_add_f32_e32 v4, v4, v5
	s_waitcnt lgkmcnt(2)
	v_add_f32_e32 v4, v4, v26
	v_add_f32_e32 v4, v4, v27
	s_waitcnt lgkmcnt(1)
	v_add_f32_e32 v4, v4, v28
	v_add_f32_e32 v4, v4, v29
	s_waitcnt lgkmcnt(0)
	v_add_f32_e32 v5, v4, v30
.LBB24_22:                              ;   in Loop: Header=BB24_13 Depth=1
	s_or_b64 exec, exec, s[44:45]
	s_and_b64 vcc, exec, s[42:43]
	s_cbranch_vccnz .LBB24_25
.LBB24_23:                              ;   in Loop: Header=BB24_13 Depth=1
	v_mov_b32_e32 v6, v5
	s_and_saveexec_b64 s[42:43], s[18:19]
	s_cbranch_execnz .LBB24_26
	s_branch .LBB24_27
.LBB24_24:                              ;   in Loop: Header=BB24_13 Depth=1
	s_mov_b64 s[18:19], 0
                                        ; implicit-def: $vgpr5
	s_cbranch_execz .LBB24_23
.LBB24_25:                              ;   in Loop: Header=BB24_13 Depth=1
	s_andn2_b64 s[18:19], s[18:19], exec
	s_and_b64 s[42:43], s[6:7], exec
	s_or_b64 s[18:19], s[18:19], s[42:43]
	s_and_saveexec_b64 s[42:43], s[18:19]
.LBB24_26:                              ;   in Loop: Header=BB24_13 Depth=1
	ds_write_b32 v17, v6 offset:8192
.LBB24_27:                              ;   in Loop: Header=BB24_13 Depth=1
	s_or_b64 exec, exec, s[42:43]
	s_waitcnt lgkmcnt(0)
	s_barrier
	s_and_saveexec_b64 s[18:19], s[12:13]
	s_cbranch_execz .LBB24_12
; %bb.28:                               ;   in Loop: Header=BB24_13 Depth=1
	global_load_dword v6, v17, s[0:1]
	ds_read_b32 v7, v17 offset:8192
	s_mov_b64 s[44:45], s[28:29]
	v_mov_b64_e32 v[4:5], v[0:1]
	s_waitcnt vmcnt(0) lgkmcnt(0)
	v_mul_f32_e64 v26, v7, -v6
	v_mov_b64_e32 v[6:7], v[16:17]
	s_and_saveexec_b64 s[42:43], s[8:9]
	s_cbranch_execz .LBB24_36
; %bb.29:                               ;   in Loop: Header=BB24_13 Depth=1
	s_mul_i32 s33, s25, s30
	s_mul_i32 s44, s24, s31
	v_mov_b32_e32 v4, s30
	s_add_i32 s33, s44, s33
	v_mad_u64_u32 v[4:5], s[44:45], s24, v4, v[8:9]
	v_add_u32_e32 v5, s33, v5
	v_lshl_add_u64 v[6:7], v[4:5], 0, v[10:11]
	v_cmp_ge_u64_e32 vcc, v[6:7], v[4:5]
	s_mov_b64 s[46:47], -1
	s_and_b64 s[48:49], vcc, s[40:41]
	v_mov_b64_e32 v[4:5], v[0:1]
	v_mov_b64_e32 v[6:7], v[16:17]
	s_and_saveexec_b64 s[44:45], s[48:49]
	s_cbranch_execz .LBB24_35
; %bb.30:                               ;   in Loop: Header=BB24_13 Depth=1
	v_mov_b64_e32 v[6:7], v[2:3]
	v_mov_b32_e32 v27, v26
	s_mov_b64 s[46:47], 0
	v_mov_b64_e32 v[28:29], v[12:13]
	v_mov_b64_e32 v[30:31], v[20:21]
	;; [unrolled: 1-line block ×3, first 2 shown]
.LBB24_31:                              ;   Parent Loop BB24_13 Depth=1
                                        ; =>  This Inner Loop Header: Depth=2
	global_load_dword v44, v[30:31], off offset:-4096
	global_load_dword v45, v[30:31], off
	v_lshlrev_b32_e32 v46, 2, v4
	v_lshlrev_b32_e32 v47, 2, v6
	ds_read_b32 v46, v46
	ds_read_b32 v47, v47
	v_lshl_add_u64 v[28:29], v[28:29], 0, -2
	v_cmp_eq_u64_e32 vcc, 0, v[28:29]
	v_lshl_add_u64 v[6:7], v[6:7], 0, s[34:35]
	v_lshl_add_u64 v[4:5], v[4:5], 0, s[34:35]
	s_or_b64 s[46:47], vcc, s[46:47]
	s_waitcnt vmcnt(0) lgkmcnt(0)
	v_pk_fma_f32 v[44:45], v[26:27], v[46:47], v[44:45]
	global_store_dword v[30:31], v44, off offset:-4096
	global_store_dword v[30:31], v45, off
	v_lshl_add_u64 v[30:31], v[30:31], 0, s[36:37]
	s_andn2_b64 exec, exec, s[46:47]
	s_cbranch_execnz .LBB24_31
; %bb.32:                               ;   in Loop: Header=BB24_13 Depth=1
	s_or_b64 exec, exec, s[46:47]
	s_mov_b64 s[46:47], 0
	s_and_saveexec_b64 s[48:49], s[10:11]
; %bb.33:                               ;   in Loop: Header=BB24_13 Depth=1
	s_mov_b64 s[46:47], exec
; %bb.34:                               ;   in Loop: Header=BB24_13 Depth=1
	s_or_b64 exec, exec, s[48:49]
	s_orn2_b64 s[46:47], s[46:47], exec
	v_mov_b64_e32 v[4:5], v[14:15]
	v_mov_b64_e32 v[6:7], v[22:23]
.LBB24_35:                              ;   in Loop: Header=BB24_13 Depth=1
	s_or_b64 exec, exec, s[44:45]
	s_andn2_b64 s[44:45], s[28:29], exec
	s_and_b64 s[46:47], s[46:47], exec
	s_or_b64 s[44:45], s[44:45], s[46:47]
.LBB24_36:                              ;   in Loop: Header=BB24_13 Depth=1
	s_or_b64 exec, exec, s[42:43]
	s_and_b64 exec, exec, s[44:45]
	s_cbranch_execz .LBB24_12
; %bb.37:                               ;   in Loop: Header=BB24_13 Depth=1
	v_lshlrev_b32_e32 v27, 2, v4
	v_lshl_add_u64 v[6:7], s[20:21], 0, v[6:7]
	s_mov_b64 s[42:43], 0
.LBB24_38:                              ;   Parent Loop BB24_13 Depth=1
                                        ; =>  This Inner Loop Header: Depth=2
	global_load_dword v28, v[6:7], off
	ds_read_b32 v29, v27
	v_lshl_add_u64 v[4:5], v[4:5], 0, s[38:39]
	v_cmp_le_i64_e32 vcc, s[16:17], v[4:5]
	v_add_u32_e32 v27, 0x1000, v27
	s_or_b64 s[42:43], vcc, s[42:43]
	s_waitcnt vmcnt(0) lgkmcnt(0)
	v_fmac_f32_e32 v28, v26, v29
	global_store_dword v[6:7], v28, off
	v_lshl_add_u64 v[6:7], v[6:7], 0, s[22:23]
	s_andn2_b64 exec, exec, s[42:43]
	s_cbranch_execnz .LBB24_38
	s_branch .LBB24_12
.LBB24_39:
	s_endpgm
	.section	.rodata,"a",@progbits
	.p2align	6, 0x0
	.amdhsa_kernel _ZN9rocsolver6v33100L22larf_left_kernel_smallILi1024EflPfEEvT1_S3_T2_lS3_lPKT0_lS4_lS3_l
		.amdhsa_group_segment_fixed_size 12288
		.amdhsa_private_segment_fixed_size 0
		.amdhsa_kernarg_size 96
		.amdhsa_user_sgpr_count 2
		.amdhsa_user_sgpr_dispatch_ptr 0
		.amdhsa_user_sgpr_queue_ptr 0
		.amdhsa_user_sgpr_kernarg_segment_ptr 1
		.amdhsa_user_sgpr_dispatch_id 0
		.amdhsa_user_sgpr_kernarg_preload_length 0
		.amdhsa_user_sgpr_kernarg_preload_offset 0
		.amdhsa_user_sgpr_private_segment_size 0
		.amdhsa_uses_dynamic_stack 0
		.amdhsa_enable_private_segment 0
		.amdhsa_system_sgpr_workgroup_id_x 1
		.amdhsa_system_sgpr_workgroup_id_y 1
		.amdhsa_system_sgpr_workgroup_id_z 0
		.amdhsa_system_sgpr_workgroup_info 0
		.amdhsa_system_vgpr_workitem_id 0
		.amdhsa_next_free_vgpr 48
		.amdhsa_next_free_sgpr 50
		.amdhsa_accum_offset 48
		.amdhsa_reserve_vcc 1
		.amdhsa_float_round_mode_32 0
		.amdhsa_float_round_mode_16_64 0
		.amdhsa_float_denorm_mode_32 3
		.amdhsa_float_denorm_mode_16_64 3
		.amdhsa_dx10_clamp 1
		.amdhsa_ieee_mode 1
		.amdhsa_fp16_overflow 0
		.amdhsa_tg_split 0
		.amdhsa_exception_fp_ieee_invalid_op 0
		.amdhsa_exception_fp_denorm_src 0
		.amdhsa_exception_fp_ieee_div_zero 0
		.amdhsa_exception_fp_ieee_overflow 0
		.amdhsa_exception_fp_ieee_underflow 0
		.amdhsa_exception_fp_ieee_inexact 0
		.amdhsa_exception_int_div_zero 0
	.end_amdhsa_kernel
	.section	.text._ZN9rocsolver6v33100L22larf_left_kernel_smallILi1024EflPfEEvT1_S3_T2_lS3_lPKT0_lS4_lS3_l,"axG",@progbits,_ZN9rocsolver6v33100L22larf_left_kernel_smallILi1024EflPfEEvT1_S3_T2_lS3_lPKT0_lS4_lS3_l,comdat
.Lfunc_end24:
	.size	_ZN9rocsolver6v33100L22larf_left_kernel_smallILi1024EflPfEEvT1_S3_T2_lS3_lPKT0_lS4_lS3_l, .Lfunc_end24-_ZN9rocsolver6v33100L22larf_left_kernel_smallILi1024EflPfEEvT1_S3_T2_lS3_lPKT0_lS4_lS3_l
                                        ; -- End function
	.set _ZN9rocsolver6v33100L22larf_left_kernel_smallILi1024EflPfEEvT1_S3_T2_lS3_lPKT0_lS4_lS3_l.num_vgpr, 48
	.set _ZN9rocsolver6v33100L22larf_left_kernel_smallILi1024EflPfEEvT1_S3_T2_lS3_lPKT0_lS4_lS3_l.num_agpr, 0
	.set _ZN9rocsolver6v33100L22larf_left_kernel_smallILi1024EflPfEEvT1_S3_T2_lS3_lPKT0_lS4_lS3_l.numbered_sgpr, 50
	.set _ZN9rocsolver6v33100L22larf_left_kernel_smallILi1024EflPfEEvT1_S3_T2_lS3_lPKT0_lS4_lS3_l.num_named_barrier, 0
	.set _ZN9rocsolver6v33100L22larf_left_kernel_smallILi1024EflPfEEvT1_S3_T2_lS3_lPKT0_lS4_lS3_l.private_seg_size, 0
	.set _ZN9rocsolver6v33100L22larf_left_kernel_smallILi1024EflPfEEvT1_S3_T2_lS3_lPKT0_lS4_lS3_l.uses_vcc, 1
	.set _ZN9rocsolver6v33100L22larf_left_kernel_smallILi1024EflPfEEvT1_S3_T2_lS3_lPKT0_lS4_lS3_l.uses_flat_scratch, 0
	.set _ZN9rocsolver6v33100L22larf_left_kernel_smallILi1024EflPfEEvT1_S3_T2_lS3_lPKT0_lS4_lS3_l.has_dyn_sized_stack, 0
	.set _ZN9rocsolver6v33100L22larf_left_kernel_smallILi1024EflPfEEvT1_S3_T2_lS3_lPKT0_lS4_lS3_l.has_recursion, 0
	.set _ZN9rocsolver6v33100L22larf_left_kernel_smallILi1024EflPfEEvT1_S3_T2_lS3_lPKT0_lS4_lS3_l.has_indirect_call, 0
	.section	.AMDGPU.csdata,"",@progbits
; Kernel info:
; codeLenInByte = 2176
; TotalNumSgprs: 56
; NumVgprs: 48
; NumAgprs: 0
; TotalNumVgprs: 48
; ScratchSize: 0
; MemoryBound: 0
; FloatMode: 240
; IeeeMode: 1
; LDSByteSize: 12288 bytes/workgroup (compile time only)
; SGPRBlocks: 6
; VGPRBlocks: 5
; NumSGPRsForWavesPerEU: 56
; NumVGPRsForWavesPerEU: 48
; AccumOffset: 48
; Occupancy: 8
; WaveLimiterHint : 1
; COMPUTE_PGM_RSRC2:SCRATCH_EN: 0
; COMPUTE_PGM_RSRC2:USER_SGPR: 2
; COMPUTE_PGM_RSRC2:TRAP_HANDLER: 0
; COMPUTE_PGM_RSRC2:TGID_X_EN: 1
; COMPUTE_PGM_RSRC2:TGID_Y_EN: 1
; COMPUTE_PGM_RSRC2:TGID_Z_EN: 0
; COMPUTE_PGM_RSRC2:TIDIG_COMP_CNT: 0
; COMPUTE_PGM_RSRC3_GFX90A:ACCUM_OFFSET: 11
; COMPUTE_PGM_RSRC3_GFX90A:TG_SPLIT: 0
	.section	.text._ZN9rocsolver6v33100L23larf_right_kernel_smallILi64EflPfEEvT1_S3_T2_lS3_lPKT0_lS4_lS3_l,"axG",@progbits,_ZN9rocsolver6v33100L23larf_right_kernel_smallILi64EflPfEEvT1_S3_T2_lS3_lPKT0_lS4_lS3_l,comdat
	.globl	_ZN9rocsolver6v33100L23larf_right_kernel_smallILi64EflPfEEvT1_S3_T2_lS3_lPKT0_lS4_lS3_l ; -- Begin function _ZN9rocsolver6v33100L23larf_right_kernel_smallILi64EflPfEEvT1_S3_T2_lS3_lPKT0_lS4_lS3_l
	.p2align	8
	.type	_ZN9rocsolver6v33100L23larf_right_kernel_smallILi64EflPfEEvT1_S3_T2_lS3_lPKT0_lS4_lS3_l,@function
_ZN9rocsolver6v33100L23larf_right_kernel_smallILi64EflPfEEvT1_S3_T2_lS3_lPKT0_lS4_lS3_l: ; @_ZN9rocsolver6v33100L23larf_right_kernel_smallILi64EflPfEEvT1_S3_T2_lS3_lPKT0_lS4_lS3_l
; %bb.0:
	s_load_dwordx16 s[8:23], s[0:1], 0x0
	s_mov_b32 s6, s3
	s_mov_b64 s[26:27], 0
	s_waitcnt lgkmcnt(0)
	v_cmp_gt_i64_e64 s[4:5], s[16:17], 0
	s_and_b64 vcc, exec, s[4:5]
	s_cbranch_vccnz .LBB25_2
; %bb.1:
	s_sub_u32 s3, 1, s10
	s_subb_u32 s4, 0, s11
	s_mul_i32 s4, s16, s4
	s_mul_hi_u32 s5, s16, s3
	s_add_i32 s4, s5, s4
	s_mul_i32 s5, s17, s3
	s_add_i32 s27, s4, s5
	s_mul_i32 s26, s16, s3
.LBB25_2:
	v_mov_b32_e32 v1, 0
	s_mov_b32 s7, 0
	v_cmp_gt_i64_e64 s[4:5], s[10:11], v[0:1]
	s_and_saveexec_b64 s[24:25], s[4:5]
	s_cbranch_execz .LBB25_10
; %bb.3:
	v_mov_b32_e32 v3, -1
	v_not_b32_e32 v2, v0
	s_mul_i32 s3, s19, s2
	s_mul_hi_u32 s19, s18, s2
	v_lshl_add_u64 v[2:3], s[10:11], 0, v[2:3]
	s_add_i32 s19, s19, s3
	s_mul_i32 s18, s18, s2
	v_cmp_lt_u64_e32 vcc, 63, v[2:3]
	s_mov_b64 s[30:31], -1
	v_mov_b64_e32 v[6:7], v[0:1]
	s_and_saveexec_b64 s[28:29], vcc
	s_cbranch_execz .LBB25_7
; %bb.4:
	s_lshl_b64 s[30:31], s[18:19], 2
	s_add_u32 s3, s12, s30
	s_addc_u32 s33, s13, s31
	s_lshl_b64 s[30:31], s[14:15], 2
	s_add_u32 s3, s3, s30
	v_lshrrev_b64 v[2:3], 6, v[2:3]
	s_addc_u32 s33, s33, s31
	s_lshl_b64 s[30:31], s[26:27], 2
	v_lshl_add_u64 v[2:3], v[2:3], 0, 1
	s_add_u32 s30, s3, s30
	v_and_b32_e32 v4, -2, v2
	v_mov_b32_e32 v5, v3
	v_mov_b32_e32 v9, 0
	s_addc_u32 s31, s33, s31
	s_mov_b32 s3, s16
	s_mov_b32 s33, s17
	v_or_b32_e32 v6, 64, v0
	v_mov_b32_e32 v8, v0
	v_mov_b32_e32 v7, v9
	s_mov_b64 s[34:35], 0
	s_mov_b64 s[36:37], 0x80
	v_mov_b64_e32 v[10:11], v[4:5]
.LBB25_5:                               ; =>This Inner Loop Header: Depth=1
	v_mul_lo_u32 v18, v9, s16
	v_mul_lo_u32 v19, v8, s17
	v_mad_u64_u32 v[14:15], s[38:39], v8, s16, 0
	v_mul_lo_u32 v16, v7, s3
	v_mul_lo_u32 v17, v6, s33
	v_mad_u64_u32 v[12:13], s[38:39], v6, s3, 0
	v_add3_u32 v15, v15, v19, v18
	v_add3_u32 v13, v13, v17, v16
	v_lshl_add_u64 v[14:15], v[14:15], 2, s[30:31]
	v_lshl_add_u64 v[12:13], v[12:13], 2, s[30:31]
	global_load_dword v16, v[14:15], off
	global_load_dword v17, v[12:13], off
	v_lshl_add_u64 v[10:11], v[10:11], 0, -2
	v_cmp_eq_u64_e32 vcc, 0, v[10:11]
	v_lshlrev_b32_e32 v12, 2, v8
	v_lshlrev_b32_e32 v13, 2, v6
	v_lshl_add_u64 v[6:7], v[6:7], 0, s[36:37]
	v_lshl_add_u64 v[8:9], v[8:9], 0, s[36:37]
	s_or_b64 s[34:35], vcc, s[34:35]
	s_waitcnt vmcnt(1)
	ds_write_b32 v12, v16
	s_waitcnt vmcnt(0)
	ds_write_b32 v13, v17
	s_andn2_b64 exec, exec, s[34:35]
	s_cbranch_execnz .LBB25_5
; %bb.6:
	s_or_b64 exec, exec, s[34:35]
	v_lshlrev_b64 v[6:7], 6, v[4:5]
	v_cmp_ne_u64_e32 vcc, v[2:3], v[4:5]
	v_or_b32_e32 v6, v6, v0
	s_orn2_b64 s[30:31], vcc, exec
.LBB25_7:
	s_or_b64 exec, exec, s[28:29]
	s_and_b64 exec, exec, s[30:31]
	s_cbranch_execz .LBB25_10
; %bb.8:
	s_lshl_b64 s[18:19], s[18:19], 2
	s_lshl_b64 s[26:27], s[26:27], 2
	;; [unrolled: 1-line block ×3, first 2 shown]
	s_add_u32 s3, s12, s14
	s_addc_u32 s12, s13, s15
	s_add_u32 s3, s3, s26
	s_addc_u32 s13, s12, s27
	v_mul_lo_u32 v4, v7, s16
	v_mul_lo_u32 v5, v6, s17
	v_mad_u64_u32 v[2:3], s[28:29], v6, s16, 0
	s_add_u32 s12, s3, s18
	v_add3_u32 v3, v3, v5, v4
	s_addc_u32 s13, s13, s19
	v_lshl_add_u64 v[2:3], v[2:3], 2, s[12:13]
	s_lshl_b64 s[12:13], s[16:17], 8
	v_lshlrev_b32_e32 v4, 2, v6
	s_mov_b64 s[14:15], 0
.LBB25_9:                               ; =>This Inner Loop Header: Depth=1
	global_load_dword v5, v[2:3], off
	v_lshl_add_u64 v[6:7], v[6:7], 0, 64
	v_cmp_le_i64_e32 vcc, s[10:11], v[6:7]
	v_lshl_add_u64 v[2:3], v[2:3], 0, s[12:13]
	s_or_b64 s[14:15], vcc, s[14:15]
	s_waitcnt vmcnt(0)
	ds_write_b32 v4, v5
	v_add_u32_e32 v4, 0x100, v4
	s_andn2_b64 exec, exec, s[14:15]
	s_cbranch_execnz .LBB25_9
.LBB25_10:
	s_or_b64 exec, exec, s[24:25]
	v_mov_b64_e32 v[2:3], s[6:7]
	v_cmp_le_i64_e32 vcc, s[8:9], v[2:3]
	s_waitcnt lgkmcnt(0)
	; wave barrier
	s_cbranch_vccnz .LBB25_28
; %bb.11:
	s_load_dwordx8 s[12:19], s[0:1], 0x40
	s_mul_i32 s3, s23, s2
	v_mbcnt_lo_u32_b32 v6, -1, 0
	v_mbcnt_hi_u32_b32 v14, -1, v6
	v_mov_b32_e32 v6, 0x80
	s_waitcnt lgkmcnt(0)
	s_mul_i32 s1, s19, s2
	s_mul_hi_u32 s19, s18, s2
	s_mul_i32 s0, s18, s2
	s_add_i32 s1, s19, s1
	s_lshl_b64 s[28:29], s[0:1], 2
	s_add_u32 s0, s12, s28
	s_addc_u32 s1, s13, s29
	s_lshl_b64 s[30:31], s[14:15], 2
	s_add_u32 s24, s0, s30
	s_mul_hi_u32 s0, s22, s2
	s_addc_u32 s25, s1, s31
	s_add_i32 s1, s0, s3
	s_mul_i32 s0, s22, s2
	s_lshl_b64 s[0:1], s[0:1], 2
	s_add_u32 s0, s20, s0
	s_addc_u32 s1, s21, s1
	v_mad_u64_u32 v[2:3], s[20:21], s16, v0, 0
	v_mov_b32_e32 v4, v3
	s_cmp_gt_i32 s10, 1
	v_mad_u64_u32 v[4:5], s[20:21], s17, v0, v[4:5]
	s_cselect_b64 s[14:15], -1, 0
	s_lshl_b32 s26, s16, 6
	s_lshl_b64 s[20:21], s[6:7], 2
	s_add_u32 s12, s12, s20
	s_addc_u32 s13, s13, s21
	s_add_u32 s12, s12, s30
	s_addc_u32 s13, s13, s31
	s_add_u32 s12, s12, s28
	v_mov_b32_e32 v3, v4
	s_addc_u32 s13, s13, s29
	v_cmp_gt_i32_e64 s[2:3], s10, v0
	v_cmp_eq_u32_e64 s[18:19], 0, v0
	v_lshrrev_b32_e32 v10, 4, v0
	v_lshlrev_b32_e32 v11, 2, v0
	v_mul_lo_u32 v12, v0, s16
	v_lshl_add_u64 v[2:3], v[2:3], 2, s[12:13]
	s_lshl_b64 s[12:13], s[16:17], 8
	v_mov_b32_e32 v13, 0
	s_mov_b64 s[16:17], 0x100
	v_mov_b64_e32 v[4:5], s[8:9]
	v_and_b32_e32 v15, 63, v14
	v_lshl_or_b32 v16, v14, 2, v6
	s_branch .LBB25_13
.LBB25_12:                              ;   in Loop: Header=BB25_13 Depth=1
	s_or_b64 exec, exec, s[8:9]
	s_add_u32 s6, s6, 64
	s_addc_u32 s7, s7, 0
	v_cmp_ge_i64_e32 vcc, s[6:7], v[4:5]
	v_lshl_add_u64 v[2:3], v[2:3], 0, s[16:17]
	s_cbranch_vccnz .LBB25_28
.LBB25_13:                              ; =>This Loop Header: Depth=1
                                        ;     Child Loop BB25_15 Depth 2
                                        ;     Child Loop BB25_27 Depth 2
	v_mov_b32_e32 v8, 0
	s_and_saveexec_b64 s[8:9], s[2:3]
	s_cbranch_execz .LBB25_17
; %bb.14:                               ;   in Loop: Header=BB25_13 Depth=1
	s_lshl_b64 s[20:21], s[6:7], 2
	s_add_u32 s20, s24, s20
	s_addc_u32 s21, s25, s21
	v_mov_b32_e32 v8, 0
	s_mov_b64 s[22:23], 0
	v_mov_b32_e32 v6, v12
	v_mov_b32_e32 v9, v11
	;; [unrolled: 1-line block ×3, first 2 shown]
.LBB25_15:                              ;   Parent Loop BB25_13 Depth=1
                                        ; =>  This Inner Loop Header: Depth=2
	v_ashrrev_i32_e32 v7, 31, v6
	v_lshl_add_u64 v[18:19], v[6:7], 2, s[20:21]
	global_load_dword v7, v[18:19], off
	ds_read_b32 v18, v9
	v_add_u32_e32 v17, 64, v17
	v_cmp_le_i32_e32 vcc, s10, v17
	v_add_u32_e32 v9, 0x100, v9
	v_add_u32_e32 v6, s26, v6
	s_or_b64 s[22:23], vcc, s[22:23]
	s_waitcnt vmcnt(0) lgkmcnt(0)
	v_fmac_f32_e32 v8, v18, v7
	s_andn2_b64 exec, exec, s[22:23]
	s_cbranch_execnz .LBB25_15
; %bb.16:                               ;   in Loop: Header=BB25_13 Depth=1
	s_or_b64 exec, exec, s[22:23]
.LBB25_17:                              ;   in Loop: Header=BB25_13 Depth=1
	s_or_b64 exec, exec, s[8:9]
	s_and_b64 vcc, exec, s[14:15]
	s_cbranch_vccz .LBB25_22
; %bb.18:                               ;   in Loop: Header=BB25_13 Depth=1
	v_cmp_ne_u32_e32 vcc, 63, v15
	s_nop 1
	v_addc_co_u32_e32 v6, vcc, 0, v14, vcc
	v_lshlrev_b32_e32 v6, 2, v6
	ds_bpermute_b32 v6, v6, v8
	v_cmp_gt_u32_e32 vcc, 62, v15
	s_waitcnt lgkmcnt(0)
	v_add_f32_e32 v6, v8, v6
	v_cndmask_b32_e64 v7, 0, 2, vcc
	v_add_lshl_u32 v7, v7, v14, 2
	ds_bpermute_b32 v7, v7, v6
	v_cmp_gt_u32_e32 vcc, 60, v15
	s_waitcnt lgkmcnt(0)
	v_add_f32_e32 v6, v6, v7
	v_cndmask_b32_e64 v9, 0, 4, vcc
	v_add_lshl_u32 v9, v9, v14, 2
	;; [unrolled: 6-line block ×4, first 2 shown]
	ds_bpermute_b32 v7, v7, v6
	s_waitcnt lgkmcnt(0)
	v_add_f32_e32 v6, v6, v7
	ds_bpermute_b32 v7, v16, v6
	s_waitcnt lgkmcnt(0)
	v_add_f32_e32 v6, v6, v7
	s_and_saveexec_b64 s[8:9], s[18:19]
; %bb.19:                               ;   in Loop: Header=BB25_13 Depth=1
	ds_write_b32 v10, v6 offset:8192
; %bb.20:                               ;   in Loop: Header=BB25_13 Depth=1
	s_or_b64 exec, exec, s[8:9]
	s_waitcnt lgkmcnt(0)
	; wave barrier
	s_mov_b64 s[8:9], s[18:19]
.LBB25_21:                              ;   in Loop: Header=BB25_13 Depth=1
	v_mov_b32_e32 v8, v6
	s_and_saveexec_b64 s[20:21], s[8:9]
	s_cbranch_execnz .LBB25_24
	s_branch .LBB25_25
.LBB25_22:                              ;   in Loop: Header=BB25_13 Depth=1
	s_mov_b64 s[8:9], 0
                                        ; implicit-def: $vgpr6
	s_cbranch_execz .LBB25_21
; %bb.23:                               ;   in Loop: Header=BB25_13 Depth=1
	s_andn2_b64 s[8:9], s[8:9], exec
	s_and_b64 s[20:21], s[18:19], exec
	s_or_b64 s[8:9], s[8:9], s[20:21]
	s_and_saveexec_b64 s[20:21], s[8:9]
.LBB25_24:                              ;   in Loop: Header=BB25_13 Depth=1
	ds_write_b32 v13, v8 offset:8192
.LBB25_25:                              ;   in Loop: Header=BB25_13 Depth=1
	s_or_b64 exec, exec, s[20:21]
	s_waitcnt lgkmcnt(0)
	; wave barrier
	s_and_saveexec_b64 s[8:9], s[4:5]
	s_cbranch_execz .LBB25_12
; %bb.26:                               ;   in Loop: Header=BB25_13 Depth=1
	global_load_dword v8, v13, s[0:1]
	ds_read_b32 v9, v13 offset:8192
	s_mov_b64 s[20:21], 0
	v_mov_b32_e32 v17, v11
	v_mov_b64_e32 v[6:7], v[2:3]
	s_waitcnt vmcnt(0) lgkmcnt(0)
	v_mul_f32_e64 v18, v9, -v8
	v_mov_b64_e32 v[8:9], v[0:1]
.LBB25_27:                              ;   Parent Loop BB25_13 Depth=1
                                        ; =>  This Inner Loop Header: Depth=2
	global_load_dword v19, v[6:7], off
	ds_read_b32 v20, v17
	v_lshl_add_u64 v[8:9], v[8:9], 0, 64
	v_cmp_le_i64_e32 vcc, s[10:11], v[8:9]
	s_or_b64 s[20:21], vcc, s[20:21]
	v_add_u32_e32 v17, 0x100, v17
	s_waitcnt vmcnt(0) lgkmcnt(0)
	v_fmac_f32_e32 v19, v18, v20
	global_store_dword v[6:7], v19, off
	v_lshl_add_u64 v[6:7], v[6:7], 0, s[12:13]
	s_andn2_b64 exec, exec, s[20:21]
	s_cbranch_execnz .LBB25_27
	s_branch .LBB25_12
.LBB25_28:
	s_endpgm
	.section	.rodata,"a",@progbits
	.p2align	6, 0x0
	.amdhsa_kernel _ZN9rocsolver6v33100L23larf_right_kernel_smallILi64EflPfEEvT1_S3_T2_lS3_lPKT0_lS4_lS3_l
		.amdhsa_group_segment_fixed_size 8196
		.amdhsa_private_segment_fixed_size 0
		.amdhsa_kernarg_size 96
		.amdhsa_user_sgpr_count 2
		.amdhsa_user_sgpr_dispatch_ptr 0
		.amdhsa_user_sgpr_queue_ptr 0
		.amdhsa_user_sgpr_kernarg_segment_ptr 1
		.amdhsa_user_sgpr_dispatch_id 0
		.amdhsa_user_sgpr_kernarg_preload_length 0
		.amdhsa_user_sgpr_kernarg_preload_offset 0
		.amdhsa_user_sgpr_private_segment_size 0
		.amdhsa_uses_dynamic_stack 0
		.amdhsa_enable_private_segment 0
		.amdhsa_system_sgpr_workgroup_id_x 1
		.amdhsa_system_sgpr_workgroup_id_y 1
		.amdhsa_system_sgpr_workgroup_id_z 0
		.amdhsa_system_sgpr_workgroup_info 0
		.amdhsa_system_vgpr_workitem_id 0
		.amdhsa_next_free_vgpr 81
		.amdhsa_next_free_sgpr 96
		.amdhsa_accum_offset 24
		.amdhsa_reserve_vcc 1
		.amdhsa_float_round_mode_32 0
		.amdhsa_float_round_mode_16_64 0
		.amdhsa_float_denorm_mode_32 3
		.amdhsa_float_denorm_mode_16_64 3
		.amdhsa_dx10_clamp 1
		.amdhsa_ieee_mode 1
		.amdhsa_fp16_overflow 0
		.amdhsa_tg_split 0
		.amdhsa_exception_fp_ieee_invalid_op 0
		.amdhsa_exception_fp_denorm_src 0
		.amdhsa_exception_fp_ieee_div_zero 0
		.amdhsa_exception_fp_ieee_overflow 0
		.amdhsa_exception_fp_ieee_underflow 0
		.amdhsa_exception_fp_ieee_inexact 0
		.amdhsa_exception_int_div_zero 0
	.end_amdhsa_kernel
	.section	.text._ZN9rocsolver6v33100L23larf_right_kernel_smallILi64EflPfEEvT1_S3_T2_lS3_lPKT0_lS4_lS3_l,"axG",@progbits,_ZN9rocsolver6v33100L23larf_right_kernel_smallILi64EflPfEEvT1_S3_T2_lS3_lPKT0_lS4_lS3_l,comdat
.Lfunc_end25:
	.size	_ZN9rocsolver6v33100L23larf_right_kernel_smallILi64EflPfEEvT1_S3_T2_lS3_lPKT0_lS4_lS3_l, .Lfunc_end25-_ZN9rocsolver6v33100L23larf_right_kernel_smallILi64EflPfEEvT1_S3_T2_lS3_lPKT0_lS4_lS3_l
                                        ; -- End function
	.set _ZN9rocsolver6v33100L23larf_right_kernel_smallILi64EflPfEEvT1_S3_T2_lS3_lPKT0_lS4_lS3_l.num_vgpr, 21
	.set _ZN9rocsolver6v33100L23larf_right_kernel_smallILi64EflPfEEvT1_S3_T2_lS3_lPKT0_lS4_lS3_l.num_agpr, 0
	.set _ZN9rocsolver6v33100L23larf_right_kernel_smallILi64EflPfEEvT1_S3_T2_lS3_lPKT0_lS4_lS3_l.numbered_sgpr, 40
	.set _ZN9rocsolver6v33100L23larf_right_kernel_smallILi64EflPfEEvT1_S3_T2_lS3_lPKT0_lS4_lS3_l.num_named_barrier, 0
	.set _ZN9rocsolver6v33100L23larf_right_kernel_smallILi64EflPfEEvT1_S3_T2_lS3_lPKT0_lS4_lS3_l.private_seg_size, 0
	.set _ZN9rocsolver6v33100L23larf_right_kernel_smallILi64EflPfEEvT1_S3_T2_lS3_lPKT0_lS4_lS3_l.uses_vcc, 1
	.set _ZN9rocsolver6v33100L23larf_right_kernel_smallILi64EflPfEEvT1_S3_T2_lS3_lPKT0_lS4_lS3_l.uses_flat_scratch, 0
	.set _ZN9rocsolver6v33100L23larf_right_kernel_smallILi64EflPfEEvT1_S3_T2_lS3_lPKT0_lS4_lS3_l.has_dyn_sized_stack, 0
	.set _ZN9rocsolver6v33100L23larf_right_kernel_smallILi64EflPfEEvT1_S3_T2_lS3_lPKT0_lS4_lS3_l.has_recursion, 0
	.set _ZN9rocsolver6v33100L23larf_right_kernel_smallILi64EflPfEEvT1_S3_T2_lS3_lPKT0_lS4_lS3_l.has_indirect_call, 0
	.section	.AMDGPU.csdata,"",@progbits
; Kernel info:
; codeLenInByte = 1420
; TotalNumSgprs: 46
; NumVgprs: 21
; NumAgprs: 0
; TotalNumVgprs: 21
; ScratchSize: 0
; MemoryBound: 0
; FloatMode: 240
; IeeeMode: 1
; LDSByteSize: 8196 bytes/workgroup (compile time only)
; SGPRBlocks: 12
; VGPRBlocks: 10
; NumSGPRsForWavesPerEU: 102
; NumVGPRsForWavesPerEU: 81
; AccumOffset: 24
; Occupancy: 5
; WaveLimiterHint : 0
; COMPUTE_PGM_RSRC2:SCRATCH_EN: 0
; COMPUTE_PGM_RSRC2:USER_SGPR: 2
; COMPUTE_PGM_RSRC2:TRAP_HANDLER: 0
; COMPUTE_PGM_RSRC2:TGID_X_EN: 1
; COMPUTE_PGM_RSRC2:TGID_Y_EN: 1
; COMPUTE_PGM_RSRC2:TGID_Z_EN: 0
; COMPUTE_PGM_RSRC2:TIDIG_COMP_CNT: 0
; COMPUTE_PGM_RSRC3_GFX90A:ACCUM_OFFSET: 5
; COMPUTE_PGM_RSRC3_GFX90A:TG_SPLIT: 0
	.section	.text._ZN9rocsolver6v33100L23larf_right_kernel_smallILi128EflPfEEvT1_S3_T2_lS3_lPKT0_lS4_lS3_l,"axG",@progbits,_ZN9rocsolver6v33100L23larf_right_kernel_smallILi128EflPfEEvT1_S3_T2_lS3_lPKT0_lS4_lS3_l,comdat
	.globl	_ZN9rocsolver6v33100L23larf_right_kernel_smallILi128EflPfEEvT1_S3_T2_lS3_lPKT0_lS4_lS3_l ; -- Begin function _ZN9rocsolver6v33100L23larf_right_kernel_smallILi128EflPfEEvT1_S3_T2_lS3_lPKT0_lS4_lS3_l
	.p2align	8
	.type	_ZN9rocsolver6v33100L23larf_right_kernel_smallILi128EflPfEEvT1_S3_T2_lS3_lPKT0_lS4_lS3_l,@function
_ZN9rocsolver6v33100L23larf_right_kernel_smallILi128EflPfEEvT1_S3_T2_lS3_lPKT0_lS4_lS3_l: ; @_ZN9rocsolver6v33100L23larf_right_kernel_smallILi128EflPfEEvT1_S3_T2_lS3_lPKT0_lS4_lS3_l
; %bb.0:
	s_load_dwordx16 s[12:27], s[0:1], 0x0
	s_mov_b32 s10, s3
	s_mov_b64 s[6:7], 0
	s_waitcnt lgkmcnt(0)
	v_cmp_gt_i64_e64 s[4:5], s[20:21], 0
	s_and_b64 vcc, exec, s[4:5]
	s_cbranch_vccnz .LBB26_2
; %bb.1:
	s_sub_u32 s3, 1, s14
	s_subb_u32 s4, 0, s15
	s_mul_i32 s4, s20, s4
	s_mul_hi_u32 s5, s20, s3
	s_add_i32 s4, s5, s4
	s_mul_i32 s5, s21, s3
	s_add_i32 s7, s4, s5
	s_mul_i32 s6, s20, s3
.LBB26_2:
	v_mov_b32_e32 v1, 0
	s_mov_b32 s11, 0
	v_cmp_gt_i64_e64 s[8:9], s[14:15], v[0:1]
	s_and_saveexec_b64 s[4:5], s[8:9]
	s_cbranch_execz .LBB26_10
; %bb.3:
	v_mov_b32_e32 v3, -1
	v_not_b32_e32 v2, v0
	s_mul_i32 s3, s23, s2
	s_mul_hi_u32 s23, s22, s2
	v_lshl_add_u64 v[2:3], s[14:15], 0, v[2:3]
	s_mov_b64 s[28:29], 0x7f
	s_add_i32 s23, s23, s3
	s_mul_i32 s22, s22, s2
	v_cmp_lt_u64_e32 vcc, s[28:29], v[2:3]
	s_mov_b64 s[30:31], -1
	v_mov_b64_e32 v[6:7], v[0:1]
	s_and_saveexec_b64 s[28:29], vcc
	s_cbranch_execz .LBB26_7
; %bb.4:
	s_lshl_b64 s[30:31], s[22:23], 2
	s_add_u32 s3, s16, s30
	s_addc_u32 s33, s17, s31
	s_lshl_b64 s[30:31], s[18:19], 2
	s_add_u32 s3, s3, s30
	v_lshrrev_b64 v[2:3], 7, v[2:3]
	s_addc_u32 s33, s33, s31
	s_lshl_b64 s[30:31], s[6:7], 2
	v_lshl_add_u64 v[2:3], v[2:3], 0, 1
	s_add_u32 s30, s3, s30
	v_and_b32_e32 v4, -2, v2
	v_mov_b32_e32 v5, v3
	v_mov_b32_e32 v9, 0
	s_addc_u32 s31, s33, s31
	s_mov_b32 s3, s20
	s_mov_b32 s33, s21
	v_or_b32_e32 v6, 0x80, v0
	v_mov_b32_e32 v8, v0
	v_mov_b32_e32 v7, v9
	s_mov_b64 s[34:35], 0
	s_mov_b64 s[36:37], 0x100
	v_mov_b64_e32 v[10:11], v[4:5]
.LBB26_5:                               ; =>This Inner Loop Header: Depth=1
	v_mul_lo_u32 v18, v9, s20
	v_mul_lo_u32 v19, v8, s21
	v_mad_u64_u32 v[14:15], s[38:39], v8, s20, 0
	v_mul_lo_u32 v16, v7, s3
	v_mul_lo_u32 v17, v6, s33
	v_mad_u64_u32 v[12:13], s[38:39], v6, s3, 0
	v_add3_u32 v15, v15, v19, v18
	v_add3_u32 v13, v13, v17, v16
	v_lshl_add_u64 v[14:15], v[14:15], 2, s[30:31]
	v_lshl_add_u64 v[12:13], v[12:13], 2, s[30:31]
	global_load_dword v16, v[14:15], off
	global_load_dword v17, v[12:13], off
	v_lshl_add_u64 v[10:11], v[10:11], 0, -2
	v_cmp_eq_u64_e32 vcc, 0, v[10:11]
	v_lshlrev_b32_e32 v12, 2, v8
	v_lshlrev_b32_e32 v13, 2, v6
	v_lshl_add_u64 v[6:7], v[6:7], 0, s[36:37]
	v_lshl_add_u64 v[8:9], v[8:9], 0, s[36:37]
	s_or_b64 s[34:35], vcc, s[34:35]
	s_waitcnt vmcnt(1)
	ds_write_b32 v12, v16
	s_waitcnt vmcnt(0)
	ds_write_b32 v13, v17
	s_andn2_b64 exec, exec, s[34:35]
	s_cbranch_execnz .LBB26_5
; %bb.6:
	s_or_b64 exec, exec, s[34:35]
	v_lshlrev_b64 v[6:7], 7, v[4:5]
	v_cmp_ne_u64_e32 vcc, v[2:3], v[4:5]
	v_or_b32_e32 v6, v6, v0
	s_orn2_b64 s[30:31], vcc, exec
.LBB26_7:
	s_or_b64 exec, exec, s[28:29]
	s_and_b64 exec, exec, s[30:31]
	s_cbranch_execz .LBB26_10
; %bb.8:
	s_lshl_b64 s[22:23], s[22:23], 2
	s_lshl_b64 s[6:7], s[6:7], 2
	;; [unrolled: 1-line block ×3, first 2 shown]
	s_add_u32 s3, s16, s18
	s_addc_u32 s16, s17, s19
	s_add_u32 s3, s3, s6
	s_addc_u32 s7, s16, s7
	v_mul_lo_u32 v4, v7, s20
	v_mul_lo_u32 v5, v6, s21
	v_mad_u64_u32 v[2:3], s[28:29], v6, s20, 0
	s_add_u32 s6, s3, s22
	v_add3_u32 v3, v3, v5, v4
	s_addc_u32 s7, s7, s23
	v_lshl_add_u64 v[2:3], v[2:3], 2, s[6:7]
	s_lshl_b64 s[6:7], s[20:21], 9
	v_lshlrev_b32_e32 v4, 2, v6
	s_mov_b64 s[16:17], 0
	s_mov_b64 s[18:19], 0x80
.LBB26_9:                               ; =>This Inner Loop Header: Depth=1
	global_load_dword v5, v[2:3], off
	v_lshl_add_u64 v[6:7], v[6:7], 0, s[18:19]
	v_cmp_le_i64_e32 vcc, s[14:15], v[6:7]
	v_lshl_add_u64 v[2:3], v[2:3], 0, s[6:7]
	s_or_b64 s[16:17], vcc, s[16:17]
	s_waitcnt vmcnt(0)
	ds_write_b32 v4, v5
	v_add_u32_e32 v4, 0x200, v4
	s_andn2_b64 exec, exec, s[16:17]
	s_cbranch_execnz .LBB26_9
.LBB26_10:
	s_or_b64 exec, exec, s[4:5]
	v_mov_b64_e32 v[2:3], s[10:11]
	v_cmp_le_i64_e32 vcc, s[12:13], v[2:3]
	s_waitcnt lgkmcnt(0)
	s_barrier
	s_cbranch_vccnz .LBB26_30
; %bb.11:
	s_load_dwordx8 s[16:23], s[0:1], 0x40
	s_mul_i32 s3, s27, s2
	v_and_b32_e32 v2, 63, v0
	v_mbcnt_lo_u32_b32 v6, -1, 0
	v_mbcnt_hi_u32_b32 v14, -1, v6
	s_waitcnt lgkmcnt(0)
	s_mul_i32 s1, s23, s2
	s_mul_hi_u32 s4, s22, s2
	s_mul_i32 s0, s22, s2
	s_add_i32 s1, s4, s1
	s_lshl_b64 s[22:23], s[0:1], 2
	s_add_u32 s0, s16, s22
	s_addc_u32 s1, s17, s23
	s_lshl_b64 s[34:35], s[18:19], 2
	s_add_u32 s28, s0, s34
	s_mul_hi_u32 s0, s26, s2
	s_addc_u32 s29, s1, s35
	s_add_i32 s1, s0, s3
	s_mul_i32 s0, s26, s2
	s_lshl_b64 s[0:1], s[0:1], 2
	s_add_u32 s0, s24, s0
	s_addc_u32 s1, s25, s1
	v_cmp_eq_u32_e64 s[4:5], 0, v2
	v_mad_u64_u32 v[2:3], s[24:25], s20, v0, 0
	v_mov_b32_e32 v4, v3
	s_cmp_gt_i32 s14, 1
	v_mad_u64_u32 v[4:5], s[24:25], s21, v0, v[4:5]
	s_cselect_b64 s[18:19], -1, 0
	s_lshl_b32 s30, s20, 7
	s_lshl_b64 s[24:25], s[10:11], 2
	s_add_u32 s16, s16, s24
	s_addc_u32 s17, s17, s25
	s_add_u32 s16, s16, s34
	s_addc_u32 s17, s17, s35
	s_add_u32 s16, s16, s22
	v_mov_b32_e32 v3, v4
	s_addc_u32 s17, s17, s23
	v_mov_b32_e32 v6, 0x80
	v_cmp_gt_i32_e64 s[2:3], s14, v0
	v_lshrrev_b32_e32 v10, 4, v0
	v_cmp_eq_u32_e64 s[6:7], 0, v0
	v_lshlrev_b32_e32 v11, 2, v0
	v_mul_lo_u32 v12, v0, s20
	v_lshl_add_u64 v[2:3], v[2:3], 2, s[16:17]
	s_lshl_b64 s[16:17], s[20:21], 9
	v_mov_b32_e32 v13, 0
	s_mov_b64 s[20:21], 0x80
	s_mov_b64 s[22:23], 0x100
	v_mov_b64_e32 v[4:5], s[12:13]
	v_and_b32_e32 v15, 63, v14
	v_lshl_or_b32 v16, v14, 2, v6
	s_branch .LBB26_13
.LBB26_12:                              ;   in Loop: Header=BB26_13 Depth=1
	s_or_b64 exec, exec, s[12:13]
	s_add_u32 s10, s10, 64
	s_addc_u32 s11, s11, 0
	v_cmp_ge_i64_e32 vcc, s[10:11], v[4:5]
	v_lshl_add_u64 v[2:3], v[2:3], 0, s[22:23]
	s_cbranch_vccnz .LBB26_30
.LBB26_13:                              ; =>This Loop Header: Depth=1
                                        ;     Child Loop BB26_15 Depth 2
                                        ;     Child Loop BB26_29 Depth 2
	v_mov_b32_e32 v8, 0
	s_and_saveexec_b64 s[12:13], s[2:3]
	s_cbranch_execz .LBB26_17
; %bb.14:                               ;   in Loop: Header=BB26_13 Depth=1
	s_lshl_b64 s[24:25], s[10:11], 2
	s_add_u32 s24, s28, s24
	s_addc_u32 s25, s29, s25
	v_mov_b32_e32 v8, 0
	s_mov_b64 s[26:27], 0
	v_mov_b32_e32 v6, v12
	v_mov_b32_e32 v9, v11
	;; [unrolled: 1-line block ×3, first 2 shown]
.LBB26_15:                              ;   Parent Loop BB26_13 Depth=1
                                        ; =>  This Inner Loop Header: Depth=2
	v_ashrrev_i32_e32 v7, 31, v6
	v_lshl_add_u64 v[18:19], v[6:7], 2, s[24:25]
	global_load_dword v7, v[18:19], off
	ds_read_b32 v18, v9
	v_add_u32_e32 v17, 0x80, v17
	v_cmp_le_i32_e32 vcc, s14, v17
	v_add_u32_e32 v9, 0x200, v9
	v_add_u32_e32 v6, s30, v6
	s_or_b64 s[26:27], vcc, s[26:27]
	s_waitcnt vmcnt(0) lgkmcnt(0)
	v_fmac_f32_e32 v8, v18, v7
	s_andn2_b64 exec, exec, s[26:27]
	s_cbranch_execnz .LBB26_15
; %bb.16:                               ;   in Loop: Header=BB26_13 Depth=1
	s_or_b64 exec, exec, s[26:27]
.LBB26_17:                              ;   in Loop: Header=BB26_13 Depth=1
	s_or_b64 exec, exec, s[12:13]
	s_and_b64 vcc, exec, s[18:19]
	s_cbranch_vccz .LBB26_24
; %bb.18:                               ;   in Loop: Header=BB26_13 Depth=1
	v_cmp_ne_u32_e32 vcc, 63, v15
	s_nop 1
	v_addc_co_u32_e32 v6, vcc, 0, v14, vcc
	v_lshlrev_b32_e32 v6, 2, v6
	ds_bpermute_b32 v6, v6, v8
	v_cmp_gt_u32_e32 vcc, 62, v15
	s_waitcnt lgkmcnt(0)
	v_add_f32_e32 v6, v8, v6
	v_cndmask_b32_e64 v7, 0, 2, vcc
	v_add_lshl_u32 v7, v7, v14, 2
	ds_bpermute_b32 v7, v7, v6
	v_cmp_gt_u32_e32 vcc, 60, v15
	s_waitcnt lgkmcnt(0)
	v_add_f32_e32 v6, v6, v7
	v_cndmask_b32_e64 v9, 0, 4, vcc
	v_add_lshl_u32 v9, v9, v14, 2
	;; [unrolled: 6-line block ×4, first 2 shown]
	ds_bpermute_b32 v7, v7, v6
	s_waitcnt lgkmcnt(0)
	v_add_f32_e32 v6, v6, v7
	ds_bpermute_b32 v7, v16, v6
	s_waitcnt lgkmcnt(0)
	v_add_f32_e32 v7, v6, v7
	s_and_saveexec_b64 s[12:13], s[4:5]
; %bb.19:                               ;   in Loop: Header=BB26_13 Depth=1
	ds_write_b32 v10, v7 offset:8192
; %bb.20:                               ;   in Loop: Header=BB26_13 Depth=1
	s_or_b64 exec, exec, s[12:13]
	s_mov_b64 s[24:25], 0
	s_mov_b64 s[12:13], 0
	s_waitcnt lgkmcnt(0)
	s_barrier
                                        ; implicit-def: $vgpr6
	s_and_saveexec_b64 s[26:27], s[6:7]
	s_xor_b64 s[26:27], exec, s[26:27]
	s_cbranch_execz .LBB26_22
; %bb.21:                               ;   in Loop: Header=BB26_13 Depth=1
	ds_read_b32 v6, v13 offset:8196
	s_mov_b64 s[12:13], exec
	s_waitcnt lgkmcnt(0)
	v_add_f32_e32 v6, v7, v6
.LBB26_22:                              ;   in Loop: Header=BB26_13 Depth=1
	s_or_b64 exec, exec, s[26:27]
	s_and_b64 vcc, exec, s[24:25]
	s_cbranch_vccnz .LBB26_25
.LBB26_23:                              ;   in Loop: Header=BB26_13 Depth=1
	v_mov_b32_e32 v8, v6
	s_and_saveexec_b64 s[24:25], s[12:13]
	s_cbranch_execnz .LBB26_26
	s_branch .LBB26_27
.LBB26_24:                              ;   in Loop: Header=BB26_13 Depth=1
	s_mov_b64 s[12:13], 0
                                        ; implicit-def: $vgpr6
	s_cbranch_execz .LBB26_23
.LBB26_25:                              ;   in Loop: Header=BB26_13 Depth=1
	s_andn2_b64 s[12:13], s[12:13], exec
	s_and_b64 s[24:25], s[6:7], exec
	s_or_b64 s[12:13], s[12:13], s[24:25]
	s_and_saveexec_b64 s[24:25], s[12:13]
.LBB26_26:                              ;   in Loop: Header=BB26_13 Depth=1
	ds_write_b32 v13, v8 offset:8192
.LBB26_27:                              ;   in Loop: Header=BB26_13 Depth=1
	s_or_b64 exec, exec, s[24:25]
	s_waitcnt lgkmcnt(0)
	s_barrier
	s_and_saveexec_b64 s[12:13], s[8:9]
	s_cbranch_execz .LBB26_12
; %bb.28:                               ;   in Loop: Header=BB26_13 Depth=1
	global_load_dword v8, v13, s[0:1]
	ds_read_b32 v9, v13 offset:8192
	s_mov_b64 s[24:25], 0
	v_mov_b32_e32 v17, v11
	v_mov_b64_e32 v[6:7], v[2:3]
	s_waitcnt vmcnt(0) lgkmcnt(0)
	v_mul_f32_e64 v18, v9, -v8
	v_mov_b64_e32 v[8:9], v[0:1]
.LBB26_29:                              ;   Parent Loop BB26_13 Depth=1
                                        ; =>  This Inner Loop Header: Depth=2
	global_load_dword v19, v[6:7], off
	ds_read_b32 v20, v17
	v_lshl_add_u64 v[8:9], v[8:9], 0, s[20:21]
	v_cmp_le_i64_e32 vcc, s[14:15], v[8:9]
	s_or_b64 s[24:25], vcc, s[24:25]
	v_add_u32_e32 v17, 0x200, v17
	s_waitcnt vmcnt(0) lgkmcnt(0)
	v_fmac_f32_e32 v19, v18, v20
	global_store_dword v[6:7], v19, off
	v_lshl_add_u64 v[6:7], v[6:7], 0, s[16:17]
	s_andn2_b64 exec, exec, s[24:25]
	s_cbranch_execnz .LBB26_29
	s_branch .LBB26_12
.LBB26_30:
	s_endpgm
	.section	.rodata,"a",@progbits
	.p2align	6, 0x0
	.amdhsa_kernel _ZN9rocsolver6v33100L23larf_right_kernel_smallILi128EflPfEEvT1_S3_T2_lS3_lPKT0_lS4_lS3_l
		.amdhsa_group_segment_fixed_size 8200
		.amdhsa_private_segment_fixed_size 0
		.amdhsa_kernarg_size 96
		.amdhsa_user_sgpr_count 2
		.amdhsa_user_sgpr_dispatch_ptr 0
		.amdhsa_user_sgpr_queue_ptr 0
		.amdhsa_user_sgpr_kernarg_segment_ptr 1
		.amdhsa_user_sgpr_dispatch_id 0
		.amdhsa_user_sgpr_kernarg_preload_length 0
		.amdhsa_user_sgpr_kernarg_preload_offset 0
		.amdhsa_user_sgpr_private_segment_size 0
		.amdhsa_uses_dynamic_stack 0
		.amdhsa_enable_private_segment 0
		.amdhsa_system_sgpr_workgroup_id_x 1
		.amdhsa_system_sgpr_workgroup_id_y 1
		.amdhsa_system_sgpr_workgroup_id_z 0
		.amdhsa_system_sgpr_workgroup_info 0
		.amdhsa_system_vgpr_workitem_id 0
		.amdhsa_next_free_vgpr 21
		.amdhsa_next_free_sgpr 40
		.amdhsa_accum_offset 24
		.amdhsa_reserve_vcc 1
		.amdhsa_float_round_mode_32 0
		.amdhsa_float_round_mode_16_64 0
		.amdhsa_float_denorm_mode_32 3
		.amdhsa_float_denorm_mode_16_64 3
		.amdhsa_dx10_clamp 1
		.amdhsa_ieee_mode 1
		.amdhsa_fp16_overflow 0
		.amdhsa_tg_split 0
		.amdhsa_exception_fp_ieee_invalid_op 0
		.amdhsa_exception_fp_denorm_src 0
		.amdhsa_exception_fp_ieee_div_zero 0
		.amdhsa_exception_fp_ieee_overflow 0
		.amdhsa_exception_fp_ieee_underflow 0
		.amdhsa_exception_fp_ieee_inexact 0
		.amdhsa_exception_int_div_zero 0
	.end_amdhsa_kernel
	.section	.text._ZN9rocsolver6v33100L23larf_right_kernel_smallILi128EflPfEEvT1_S3_T2_lS3_lPKT0_lS4_lS3_l,"axG",@progbits,_ZN9rocsolver6v33100L23larf_right_kernel_smallILi128EflPfEEvT1_S3_T2_lS3_lPKT0_lS4_lS3_l,comdat
.Lfunc_end26:
	.size	_ZN9rocsolver6v33100L23larf_right_kernel_smallILi128EflPfEEvT1_S3_T2_lS3_lPKT0_lS4_lS3_l, .Lfunc_end26-_ZN9rocsolver6v33100L23larf_right_kernel_smallILi128EflPfEEvT1_S3_T2_lS3_lPKT0_lS4_lS3_l
                                        ; -- End function
	.set _ZN9rocsolver6v33100L23larf_right_kernel_smallILi128EflPfEEvT1_S3_T2_lS3_lPKT0_lS4_lS3_l.num_vgpr, 21
	.set _ZN9rocsolver6v33100L23larf_right_kernel_smallILi128EflPfEEvT1_S3_T2_lS3_lPKT0_lS4_lS3_l.num_agpr, 0
	.set _ZN9rocsolver6v33100L23larf_right_kernel_smallILi128EflPfEEvT1_S3_T2_lS3_lPKT0_lS4_lS3_l.numbered_sgpr, 40
	.set _ZN9rocsolver6v33100L23larf_right_kernel_smallILi128EflPfEEvT1_S3_T2_lS3_lPKT0_lS4_lS3_l.num_named_barrier, 0
	.set _ZN9rocsolver6v33100L23larf_right_kernel_smallILi128EflPfEEvT1_S3_T2_lS3_lPKT0_lS4_lS3_l.private_seg_size, 0
	.set _ZN9rocsolver6v33100L23larf_right_kernel_smallILi128EflPfEEvT1_S3_T2_lS3_lPKT0_lS4_lS3_l.uses_vcc, 1
	.set _ZN9rocsolver6v33100L23larf_right_kernel_smallILi128EflPfEEvT1_S3_T2_lS3_lPKT0_lS4_lS3_l.uses_flat_scratch, 0
	.set _ZN9rocsolver6v33100L23larf_right_kernel_smallILi128EflPfEEvT1_S3_T2_lS3_lPKT0_lS4_lS3_l.has_dyn_sized_stack, 0
	.set _ZN9rocsolver6v33100L23larf_right_kernel_smallILi128EflPfEEvT1_S3_T2_lS3_lPKT0_lS4_lS3_l.has_recursion, 0
	.set _ZN9rocsolver6v33100L23larf_right_kernel_smallILi128EflPfEEvT1_S3_T2_lS3_lPKT0_lS4_lS3_l.has_indirect_call, 0
	.section	.AMDGPU.csdata,"",@progbits
; Kernel info:
; codeLenInByte = 1524
; TotalNumSgprs: 46
; NumVgprs: 21
; NumAgprs: 0
; TotalNumVgprs: 21
; ScratchSize: 0
; MemoryBound: 0
; FloatMode: 240
; IeeeMode: 1
; LDSByteSize: 8200 bytes/workgroup (compile time only)
; SGPRBlocks: 5
; VGPRBlocks: 2
; NumSGPRsForWavesPerEU: 46
; NumVGPRsForWavesPerEU: 21
; AccumOffset: 24
; Occupancy: 8
; WaveLimiterHint : 0
; COMPUTE_PGM_RSRC2:SCRATCH_EN: 0
; COMPUTE_PGM_RSRC2:USER_SGPR: 2
; COMPUTE_PGM_RSRC2:TRAP_HANDLER: 0
; COMPUTE_PGM_RSRC2:TGID_X_EN: 1
; COMPUTE_PGM_RSRC2:TGID_Y_EN: 1
; COMPUTE_PGM_RSRC2:TGID_Z_EN: 0
; COMPUTE_PGM_RSRC2:TIDIG_COMP_CNT: 0
; COMPUTE_PGM_RSRC3_GFX90A:ACCUM_OFFSET: 5
; COMPUTE_PGM_RSRC3_GFX90A:TG_SPLIT: 0
	.section	.text._ZN9rocsolver6v33100L23larf_right_kernel_smallILi256EflPfEEvT1_S3_T2_lS3_lPKT0_lS4_lS3_l,"axG",@progbits,_ZN9rocsolver6v33100L23larf_right_kernel_smallILi256EflPfEEvT1_S3_T2_lS3_lPKT0_lS4_lS3_l,comdat
	.globl	_ZN9rocsolver6v33100L23larf_right_kernel_smallILi256EflPfEEvT1_S3_T2_lS3_lPKT0_lS4_lS3_l ; -- Begin function _ZN9rocsolver6v33100L23larf_right_kernel_smallILi256EflPfEEvT1_S3_T2_lS3_lPKT0_lS4_lS3_l
	.p2align	8
	.type	_ZN9rocsolver6v33100L23larf_right_kernel_smallILi256EflPfEEvT1_S3_T2_lS3_lPKT0_lS4_lS3_l,@function
_ZN9rocsolver6v33100L23larf_right_kernel_smallILi256EflPfEEvT1_S3_T2_lS3_lPKT0_lS4_lS3_l: ; @_ZN9rocsolver6v33100L23larf_right_kernel_smallILi256EflPfEEvT1_S3_T2_lS3_lPKT0_lS4_lS3_l
; %bb.0:
	s_load_dwordx16 s[12:27], s[0:1], 0x0
	s_mov_b32 s10, s3
	s_mov_b64 s[6:7], 0
	s_waitcnt lgkmcnt(0)
	v_cmp_gt_i64_e64 s[4:5], s[20:21], 0
	s_and_b64 vcc, exec, s[4:5]
	s_cbranch_vccnz .LBB27_2
; %bb.1:
	s_sub_u32 s3, 1, s14
	s_subb_u32 s4, 0, s15
	s_mul_i32 s4, s20, s4
	s_mul_hi_u32 s5, s20, s3
	s_add_i32 s4, s5, s4
	s_mul_i32 s5, s21, s3
	s_add_i32 s7, s4, s5
	s_mul_i32 s6, s20, s3
.LBB27_2:
	v_mov_b32_e32 v1, 0
	s_mov_b32 s11, 0
	v_cmp_gt_i64_e64 s[8:9], s[14:15], v[0:1]
	s_and_saveexec_b64 s[4:5], s[8:9]
	s_cbranch_execz .LBB27_10
; %bb.3:
	v_mov_b32_e32 v3, -1
	v_not_b32_e32 v2, v0
	s_mul_i32 s3, s23, s2
	s_mul_hi_u32 s23, s22, s2
	v_lshl_add_u64 v[2:3], s[14:15], 0, v[2:3]
	s_mov_b64 s[28:29], 0xff
	s_add_i32 s23, s23, s3
	s_mul_i32 s22, s22, s2
	v_cmp_lt_u64_e32 vcc, s[28:29], v[2:3]
	s_mov_b64 s[30:31], -1
	v_mov_b64_e32 v[6:7], v[0:1]
	s_and_saveexec_b64 s[28:29], vcc
	s_cbranch_execz .LBB27_7
; %bb.4:
	s_lshl_b64 s[30:31], s[22:23], 2
	s_add_u32 s3, s16, s30
	s_addc_u32 s33, s17, s31
	s_lshl_b64 s[30:31], s[18:19], 2
	s_add_u32 s3, s3, s30
	v_lshrrev_b64 v[2:3], 8, v[2:3]
	s_addc_u32 s33, s33, s31
	s_lshl_b64 s[30:31], s[6:7], 2
	v_lshl_add_u64 v[2:3], v[2:3], 0, 1
	s_add_u32 s30, s3, s30
	v_and_b32_e32 v4, -2, v2
	v_mov_b32_e32 v5, v3
	v_mov_b32_e32 v9, 0
	s_addc_u32 s31, s33, s31
	s_mov_b32 s3, s20
	s_mov_b32 s33, s21
	v_or_b32_e32 v6, 0x100, v0
	v_mov_b32_e32 v8, v0
	v_mov_b32_e32 v7, v9
	s_mov_b64 s[34:35], 0
	s_mov_b64 s[36:37], 0x200
	v_mov_b64_e32 v[10:11], v[4:5]
.LBB27_5:                               ; =>This Inner Loop Header: Depth=1
	v_mul_lo_u32 v18, v9, s20
	v_mul_lo_u32 v19, v8, s21
	v_mad_u64_u32 v[14:15], s[38:39], v8, s20, 0
	v_mul_lo_u32 v16, v7, s3
	v_mul_lo_u32 v17, v6, s33
	v_mad_u64_u32 v[12:13], s[38:39], v6, s3, 0
	v_add3_u32 v15, v15, v19, v18
	v_add3_u32 v13, v13, v17, v16
	v_lshl_add_u64 v[14:15], v[14:15], 2, s[30:31]
	v_lshl_add_u64 v[12:13], v[12:13], 2, s[30:31]
	global_load_dword v16, v[14:15], off
	global_load_dword v17, v[12:13], off
	v_lshl_add_u64 v[10:11], v[10:11], 0, -2
	v_cmp_eq_u64_e32 vcc, 0, v[10:11]
	v_lshlrev_b32_e32 v12, 2, v8
	v_lshlrev_b32_e32 v13, 2, v6
	v_lshl_add_u64 v[6:7], v[6:7], 0, s[36:37]
	v_lshl_add_u64 v[8:9], v[8:9], 0, s[36:37]
	s_or_b64 s[34:35], vcc, s[34:35]
	s_waitcnt vmcnt(1)
	ds_write_b32 v12, v16
	s_waitcnt vmcnt(0)
	ds_write_b32 v13, v17
	s_andn2_b64 exec, exec, s[34:35]
	s_cbranch_execnz .LBB27_5
; %bb.6:
	s_or_b64 exec, exec, s[34:35]
	v_lshlrev_b64 v[6:7], 8, v[4:5]
	v_cmp_ne_u64_e32 vcc, v[2:3], v[4:5]
	v_or_b32_e32 v6, v6, v0
	s_orn2_b64 s[30:31], vcc, exec
.LBB27_7:
	s_or_b64 exec, exec, s[28:29]
	s_and_b64 exec, exec, s[30:31]
	s_cbranch_execz .LBB27_10
; %bb.8:
	s_lshl_b64 s[22:23], s[22:23], 2
	s_lshl_b64 s[6:7], s[6:7], 2
	;; [unrolled: 1-line block ×3, first 2 shown]
	s_add_u32 s3, s16, s18
	s_addc_u32 s16, s17, s19
	s_add_u32 s3, s3, s6
	s_addc_u32 s7, s16, s7
	v_mul_lo_u32 v4, v7, s20
	v_mul_lo_u32 v5, v6, s21
	v_mad_u64_u32 v[2:3], s[28:29], v6, s20, 0
	s_add_u32 s6, s3, s22
	v_add3_u32 v3, v3, v5, v4
	s_addc_u32 s7, s7, s23
	v_lshl_add_u64 v[2:3], v[2:3], 2, s[6:7]
	s_lshl_b64 s[6:7], s[20:21], 10
	v_lshlrev_b32_e32 v4, 2, v6
	s_mov_b64 s[16:17], 0
	s_mov_b64 s[18:19], 0x100
.LBB27_9:                               ; =>This Inner Loop Header: Depth=1
	global_load_dword v5, v[2:3], off
	v_lshl_add_u64 v[6:7], v[6:7], 0, s[18:19]
	v_cmp_le_i64_e32 vcc, s[14:15], v[6:7]
	v_lshl_add_u64 v[2:3], v[2:3], 0, s[6:7]
	s_or_b64 s[16:17], vcc, s[16:17]
	s_waitcnt vmcnt(0)
	ds_write_b32 v4, v5
	v_add_u32_e32 v4, 0x400, v4
	s_andn2_b64 exec, exec, s[16:17]
	s_cbranch_execnz .LBB27_9
.LBB27_10:
	s_or_b64 exec, exec, s[4:5]
	v_mov_b64_e32 v[2:3], s[10:11]
	v_cmp_le_i64_e32 vcc, s[12:13], v[2:3]
	s_waitcnt lgkmcnt(0)
	s_barrier
	s_cbranch_vccnz .LBB27_30
; %bb.11:
	s_load_dwordx8 s[16:23], s[0:1], 0x40
	s_mul_i32 s3, s27, s2
	v_and_b32_e32 v2, 63, v0
	v_mbcnt_lo_u32_b32 v6, -1, 0
	v_mbcnt_hi_u32_b32 v15, -1, v6
	s_waitcnt lgkmcnt(0)
	s_mul_i32 s1, s23, s2
	s_mul_hi_u32 s4, s22, s2
	s_mul_i32 s0, s22, s2
	s_add_i32 s1, s4, s1
	s_lshl_b64 s[22:23], s[0:1], 2
	s_add_u32 s0, s16, s22
	s_addc_u32 s1, s17, s23
	s_lshl_b64 s[30:31], s[18:19], 2
	s_add_u32 s27, s0, s30
	s_mul_hi_u32 s0, s26, s2
	s_addc_u32 s28, s1, s31
	s_add_i32 s1, s0, s3
	s_mul_i32 s0, s26, s2
	s_lshl_b64 s[0:1], s[0:1], 2
	s_add_u32 s0, s24, s0
	s_addc_u32 s1, s25, s1
	v_cmp_eq_u32_e64 s[4:5], 0, v2
	v_mad_u64_u32 v[2:3], s[24:25], s20, v0, 0
	v_mov_b32_e32 v4, v3
	s_cmp_gt_i32 s14, 1
	v_mad_u64_u32 v[4:5], s[24:25], s21, v0, v[4:5]
	s_cselect_b64 s[18:19], -1, 0
	s_lshl_b32 s26, s20, 8
	s_lshl_b64 s[24:25], s[10:11], 2
	s_add_u32 s16, s16, s24
	s_addc_u32 s17, s17, s25
	s_add_u32 s16, s16, s30
	s_addc_u32 s17, s17, s31
	s_add_u32 s16, s16, s22
	v_mov_b32_e32 v3, v4
	s_addc_u32 s17, s17, s23
	v_mov_b32_e32 v6, 0x80
	v_cmp_gt_i32_e64 s[2:3], s14, v0
	v_lshrrev_b32_e32 v10, 4, v0
	v_cmp_eq_u32_e64 s[6:7], 0, v0
	v_lshlrev_b32_e32 v11, 2, v0
	v_mul_lo_u32 v12, v0, s20
	v_lshl_add_u64 v[2:3], v[2:3], 2, s[16:17]
	s_lshl_b64 s[16:17], s[20:21], 10
	v_mov_b32_e32 v13, 0x2004
	v_mov_b32_e32 v14, 0
	s_mov_b64 s[20:21], 0x100
	v_mov_b64_e32 v[4:5], s[12:13]
	v_and_b32_e32 v16, 63, v15
	v_lshl_or_b32 v17, v15, 2, v6
	s_branch .LBB27_13
.LBB27_12:                              ;   in Loop: Header=BB27_13 Depth=1
	s_or_b64 exec, exec, s[12:13]
	s_add_u32 s10, s10, 64
	s_addc_u32 s11, s11, 0
	v_cmp_ge_i64_e32 vcc, s[10:11], v[4:5]
	v_lshl_add_u64 v[2:3], v[2:3], 0, s[20:21]
	s_cbranch_vccnz .LBB27_30
.LBB27_13:                              ; =>This Loop Header: Depth=1
                                        ;     Child Loop BB27_15 Depth 2
                                        ;     Child Loop BB27_29 Depth 2
	v_mov_b32_e32 v8, 0
	s_and_saveexec_b64 s[12:13], s[2:3]
	s_cbranch_execz .LBB27_17
; %bb.14:                               ;   in Loop: Header=BB27_13 Depth=1
	s_lshl_b64 s[22:23], s[10:11], 2
	s_add_u32 s22, s27, s22
	s_addc_u32 s23, s28, s23
	v_mov_b32_e32 v8, 0
	s_mov_b64 s[24:25], 0
	v_mov_b32_e32 v6, v12
	v_mov_b32_e32 v9, v11
	;; [unrolled: 1-line block ×3, first 2 shown]
.LBB27_15:                              ;   Parent Loop BB27_13 Depth=1
                                        ; =>  This Inner Loop Header: Depth=2
	v_ashrrev_i32_e32 v7, 31, v6
	v_lshl_add_u64 v[20:21], v[6:7], 2, s[22:23]
	global_load_dword v7, v[20:21], off
	ds_read_b32 v19, v9
	v_add_u32_e32 v18, 0x100, v18
	v_cmp_le_i32_e32 vcc, s14, v18
	v_add_u32_e32 v9, 0x400, v9
	v_add_u32_e32 v6, s26, v6
	s_or_b64 s[24:25], vcc, s[24:25]
	s_waitcnt vmcnt(0) lgkmcnt(0)
	v_fmac_f32_e32 v8, v19, v7
	s_andn2_b64 exec, exec, s[24:25]
	s_cbranch_execnz .LBB27_15
; %bb.16:                               ;   in Loop: Header=BB27_13 Depth=1
	s_or_b64 exec, exec, s[24:25]
.LBB27_17:                              ;   in Loop: Header=BB27_13 Depth=1
	s_or_b64 exec, exec, s[12:13]
	s_and_b64 vcc, exec, s[18:19]
	s_cbranch_vccz .LBB27_24
; %bb.18:                               ;   in Loop: Header=BB27_13 Depth=1
	v_cmp_ne_u32_e32 vcc, 63, v16
	s_nop 1
	v_addc_co_u32_e32 v6, vcc, 0, v15, vcc
	v_lshlrev_b32_e32 v6, 2, v6
	ds_bpermute_b32 v6, v6, v8
	v_cmp_gt_u32_e32 vcc, 62, v16
	s_waitcnt lgkmcnt(0)
	v_add_f32_e32 v6, v8, v6
	v_cndmask_b32_e64 v7, 0, 2, vcc
	v_add_lshl_u32 v7, v7, v15, 2
	ds_bpermute_b32 v7, v7, v6
	v_cmp_gt_u32_e32 vcc, 60, v16
	s_waitcnt lgkmcnt(0)
	v_add_f32_e32 v6, v6, v7
	v_cndmask_b32_e64 v9, 0, 4, vcc
	v_add_lshl_u32 v9, v9, v15, 2
	;; [unrolled: 6-line block ×4, first 2 shown]
	ds_bpermute_b32 v7, v7, v6
	s_waitcnt lgkmcnt(0)
	v_add_f32_e32 v6, v6, v7
	ds_bpermute_b32 v7, v17, v6
	s_waitcnt lgkmcnt(0)
	v_add_f32_e32 v7, v6, v7
	s_and_saveexec_b64 s[12:13], s[4:5]
; %bb.19:                               ;   in Loop: Header=BB27_13 Depth=1
	ds_write_b32 v10, v7 offset:8192
; %bb.20:                               ;   in Loop: Header=BB27_13 Depth=1
	s_or_b64 exec, exec, s[12:13]
	s_mov_b64 s[22:23], 0
	s_mov_b64 s[12:13], 0
	s_waitcnt lgkmcnt(0)
	s_barrier
                                        ; implicit-def: $vgpr6
	s_and_saveexec_b64 s[24:25], s[6:7]
	s_xor_b64 s[24:25], exec, s[24:25]
	s_cbranch_execz .LBB27_22
; %bb.21:                               ;   in Loop: Header=BB27_13 Depth=1
	ds_read2_b32 v[18:19], v13 offset1:1
	ds_read_b32 v6, v14 offset:8204
	s_mov_b64 s[12:13], exec
	s_waitcnt lgkmcnt(1)
	v_add_f32_e32 v7, v7, v18
	v_add_f32_e32 v7, v7, v19
	s_waitcnt lgkmcnt(0)
	v_add_f32_e32 v6, v7, v6
.LBB27_22:                              ;   in Loop: Header=BB27_13 Depth=1
	s_or_b64 exec, exec, s[24:25]
	s_and_b64 vcc, exec, s[22:23]
	s_cbranch_vccnz .LBB27_25
.LBB27_23:                              ;   in Loop: Header=BB27_13 Depth=1
	v_mov_b32_e32 v8, v6
	s_and_saveexec_b64 s[22:23], s[12:13]
	s_cbranch_execnz .LBB27_26
	s_branch .LBB27_27
.LBB27_24:                              ;   in Loop: Header=BB27_13 Depth=1
	s_mov_b64 s[12:13], 0
                                        ; implicit-def: $vgpr6
	s_cbranch_execz .LBB27_23
.LBB27_25:                              ;   in Loop: Header=BB27_13 Depth=1
	s_andn2_b64 s[12:13], s[12:13], exec
	s_and_b64 s[22:23], s[6:7], exec
	s_or_b64 s[12:13], s[12:13], s[22:23]
	s_and_saveexec_b64 s[22:23], s[12:13]
.LBB27_26:                              ;   in Loop: Header=BB27_13 Depth=1
	ds_write_b32 v14, v8 offset:8192
.LBB27_27:                              ;   in Loop: Header=BB27_13 Depth=1
	s_or_b64 exec, exec, s[22:23]
	s_waitcnt lgkmcnt(0)
	s_barrier
	s_and_saveexec_b64 s[12:13], s[8:9]
	s_cbranch_execz .LBB27_12
; %bb.28:                               ;   in Loop: Header=BB27_13 Depth=1
	global_load_dword v8, v14, s[0:1]
	ds_read_b32 v9, v14 offset:8192
	s_mov_b64 s[22:23], 0
	v_mov_b32_e32 v18, v11
	v_mov_b64_e32 v[6:7], v[2:3]
	s_waitcnt vmcnt(0) lgkmcnt(0)
	v_mul_f32_e64 v19, v9, -v8
	v_mov_b64_e32 v[8:9], v[0:1]
.LBB27_29:                              ;   Parent Loop BB27_13 Depth=1
                                        ; =>  This Inner Loop Header: Depth=2
	global_load_dword v20, v[6:7], off
	ds_read_b32 v21, v18
	v_lshl_add_u64 v[8:9], v[8:9], 0, s[20:21]
	v_cmp_le_i64_e32 vcc, s[14:15], v[8:9]
	s_or_b64 s[22:23], vcc, s[22:23]
	v_add_u32_e32 v18, 0x400, v18
	s_waitcnt vmcnt(0) lgkmcnt(0)
	v_fmac_f32_e32 v20, v19, v21
	global_store_dword v[6:7], v20, off
	v_lshl_add_u64 v[6:7], v[6:7], 0, s[16:17]
	s_andn2_b64 exec, exec, s[22:23]
	s_cbranch_execnz .LBB27_29
	s_branch .LBB27_12
.LBB27_30:
	s_endpgm
	.section	.rodata,"a",@progbits
	.p2align	6, 0x0
	.amdhsa_kernel _ZN9rocsolver6v33100L23larf_right_kernel_smallILi256EflPfEEvT1_S3_T2_lS3_lPKT0_lS4_lS3_l
		.amdhsa_group_segment_fixed_size 8208
		.amdhsa_private_segment_fixed_size 0
		.amdhsa_kernarg_size 96
		.amdhsa_user_sgpr_count 2
		.amdhsa_user_sgpr_dispatch_ptr 0
		.amdhsa_user_sgpr_queue_ptr 0
		.amdhsa_user_sgpr_kernarg_segment_ptr 1
		.amdhsa_user_sgpr_dispatch_id 0
		.amdhsa_user_sgpr_kernarg_preload_length 0
		.amdhsa_user_sgpr_kernarg_preload_offset 0
		.amdhsa_user_sgpr_private_segment_size 0
		.amdhsa_uses_dynamic_stack 0
		.amdhsa_enable_private_segment 0
		.amdhsa_system_sgpr_workgroup_id_x 1
		.amdhsa_system_sgpr_workgroup_id_y 1
		.amdhsa_system_sgpr_workgroup_id_z 0
		.amdhsa_system_sgpr_workgroup_info 0
		.amdhsa_system_vgpr_workitem_id 0
		.amdhsa_next_free_vgpr 22
		.amdhsa_next_free_sgpr 40
		.amdhsa_accum_offset 24
		.amdhsa_reserve_vcc 1
		.amdhsa_float_round_mode_32 0
		.amdhsa_float_round_mode_16_64 0
		.amdhsa_float_denorm_mode_32 3
		.amdhsa_float_denorm_mode_16_64 3
		.amdhsa_dx10_clamp 1
		.amdhsa_ieee_mode 1
		.amdhsa_fp16_overflow 0
		.amdhsa_tg_split 0
		.amdhsa_exception_fp_ieee_invalid_op 0
		.amdhsa_exception_fp_denorm_src 0
		.amdhsa_exception_fp_ieee_div_zero 0
		.amdhsa_exception_fp_ieee_overflow 0
		.amdhsa_exception_fp_ieee_underflow 0
		.amdhsa_exception_fp_ieee_inexact 0
		.amdhsa_exception_int_div_zero 0
	.end_amdhsa_kernel
	.section	.text._ZN9rocsolver6v33100L23larf_right_kernel_smallILi256EflPfEEvT1_S3_T2_lS3_lPKT0_lS4_lS3_l,"axG",@progbits,_ZN9rocsolver6v33100L23larf_right_kernel_smallILi256EflPfEEvT1_S3_T2_lS3_lPKT0_lS4_lS3_l,comdat
.Lfunc_end27:
	.size	_ZN9rocsolver6v33100L23larf_right_kernel_smallILi256EflPfEEvT1_S3_T2_lS3_lPKT0_lS4_lS3_l, .Lfunc_end27-_ZN9rocsolver6v33100L23larf_right_kernel_smallILi256EflPfEEvT1_S3_T2_lS3_lPKT0_lS4_lS3_l
                                        ; -- End function
	.set _ZN9rocsolver6v33100L23larf_right_kernel_smallILi256EflPfEEvT1_S3_T2_lS3_lPKT0_lS4_lS3_l.num_vgpr, 22
	.set _ZN9rocsolver6v33100L23larf_right_kernel_smallILi256EflPfEEvT1_S3_T2_lS3_lPKT0_lS4_lS3_l.num_agpr, 0
	.set _ZN9rocsolver6v33100L23larf_right_kernel_smallILi256EflPfEEvT1_S3_T2_lS3_lPKT0_lS4_lS3_l.numbered_sgpr, 40
	.set _ZN9rocsolver6v33100L23larf_right_kernel_smallILi256EflPfEEvT1_S3_T2_lS3_lPKT0_lS4_lS3_l.num_named_barrier, 0
	.set _ZN9rocsolver6v33100L23larf_right_kernel_smallILi256EflPfEEvT1_S3_T2_lS3_lPKT0_lS4_lS3_l.private_seg_size, 0
	.set _ZN9rocsolver6v33100L23larf_right_kernel_smallILi256EflPfEEvT1_S3_T2_lS3_lPKT0_lS4_lS3_l.uses_vcc, 1
	.set _ZN9rocsolver6v33100L23larf_right_kernel_smallILi256EflPfEEvT1_S3_T2_lS3_lPKT0_lS4_lS3_l.uses_flat_scratch, 0
	.set _ZN9rocsolver6v33100L23larf_right_kernel_smallILi256EflPfEEvT1_S3_T2_lS3_lPKT0_lS4_lS3_l.has_dyn_sized_stack, 0
	.set _ZN9rocsolver6v33100L23larf_right_kernel_smallILi256EflPfEEvT1_S3_T2_lS3_lPKT0_lS4_lS3_l.has_recursion, 0
	.set _ZN9rocsolver6v33100L23larf_right_kernel_smallILi256EflPfEEvT1_S3_T2_lS3_lPKT0_lS4_lS3_l.has_indirect_call, 0
	.section	.AMDGPU.csdata,"",@progbits
; Kernel info:
; codeLenInByte = 1544
; TotalNumSgprs: 46
; NumVgprs: 22
; NumAgprs: 0
; TotalNumVgprs: 22
; ScratchSize: 0
; MemoryBound: 0
; FloatMode: 240
; IeeeMode: 1
; LDSByteSize: 8208 bytes/workgroup (compile time only)
; SGPRBlocks: 5
; VGPRBlocks: 2
; NumSGPRsForWavesPerEU: 46
; NumVGPRsForWavesPerEU: 22
; AccumOffset: 24
; Occupancy: 8
; WaveLimiterHint : 0
; COMPUTE_PGM_RSRC2:SCRATCH_EN: 0
; COMPUTE_PGM_RSRC2:USER_SGPR: 2
; COMPUTE_PGM_RSRC2:TRAP_HANDLER: 0
; COMPUTE_PGM_RSRC2:TGID_X_EN: 1
; COMPUTE_PGM_RSRC2:TGID_Y_EN: 1
; COMPUTE_PGM_RSRC2:TGID_Z_EN: 0
; COMPUTE_PGM_RSRC2:TIDIG_COMP_CNT: 0
; COMPUTE_PGM_RSRC3_GFX90A:ACCUM_OFFSET: 5
; COMPUTE_PGM_RSRC3_GFX90A:TG_SPLIT: 0
	.section	.text._ZN9rocsolver6v33100L23larf_right_kernel_smallILi512EflPfEEvT1_S3_T2_lS3_lPKT0_lS4_lS3_l,"axG",@progbits,_ZN9rocsolver6v33100L23larf_right_kernel_smallILi512EflPfEEvT1_S3_T2_lS3_lPKT0_lS4_lS3_l,comdat
	.globl	_ZN9rocsolver6v33100L23larf_right_kernel_smallILi512EflPfEEvT1_S3_T2_lS3_lPKT0_lS4_lS3_l ; -- Begin function _ZN9rocsolver6v33100L23larf_right_kernel_smallILi512EflPfEEvT1_S3_T2_lS3_lPKT0_lS4_lS3_l
	.p2align	8
	.type	_ZN9rocsolver6v33100L23larf_right_kernel_smallILi512EflPfEEvT1_S3_T2_lS3_lPKT0_lS4_lS3_l,@function
_ZN9rocsolver6v33100L23larf_right_kernel_smallILi512EflPfEEvT1_S3_T2_lS3_lPKT0_lS4_lS3_l: ; @_ZN9rocsolver6v33100L23larf_right_kernel_smallILi512EflPfEEvT1_S3_T2_lS3_lPKT0_lS4_lS3_l
; %bb.0:
	s_load_dwordx16 s[12:27], s[0:1], 0x0
	s_mov_b32 s10, s3
	s_mov_b64 s[6:7], 0
	s_waitcnt lgkmcnt(0)
	v_cmp_gt_i64_e64 s[4:5], s[20:21], 0
	s_and_b64 vcc, exec, s[4:5]
	s_cbranch_vccnz .LBB28_2
; %bb.1:
	s_sub_u32 s3, 1, s14
	s_subb_u32 s4, 0, s15
	s_mul_i32 s4, s20, s4
	s_mul_hi_u32 s5, s20, s3
	s_add_i32 s4, s5, s4
	s_mul_i32 s5, s21, s3
	s_add_i32 s7, s4, s5
	s_mul_i32 s6, s20, s3
.LBB28_2:
	v_mov_b32_e32 v1, 0
	s_mov_b32 s11, 0
	v_cmp_gt_i64_e64 s[8:9], s[14:15], v[0:1]
	s_and_saveexec_b64 s[4:5], s[8:9]
	s_cbranch_execz .LBB28_10
; %bb.3:
	v_mov_b32_e32 v3, -1
	v_not_b32_e32 v2, v0
	s_mul_i32 s3, s23, s2
	s_mul_hi_u32 s23, s22, s2
	v_lshl_add_u64 v[2:3], s[14:15], 0, v[2:3]
	s_mov_b64 s[28:29], 0x1ff
	s_add_i32 s23, s23, s3
	s_mul_i32 s22, s22, s2
	v_cmp_lt_u64_e32 vcc, s[28:29], v[2:3]
	s_mov_b64 s[30:31], -1
	v_mov_b64_e32 v[6:7], v[0:1]
	s_and_saveexec_b64 s[28:29], vcc
	s_cbranch_execz .LBB28_7
; %bb.4:
	s_lshl_b64 s[30:31], s[22:23], 2
	s_add_u32 s3, s16, s30
	s_addc_u32 s33, s17, s31
	s_lshl_b64 s[30:31], s[18:19], 2
	s_add_u32 s3, s3, s30
	v_lshrrev_b64 v[2:3], 9, v[2:3]
	s_addc_u32 s33, s33, s31
	s_lshl_b64 s[30:31], s[6:7], 2
	v_lshl_add_u64 v[2:3], v[2:3], 0, 1
	s_add_u32 s30, s3, s30
	v_and_b32_e32 v4, -2, v2
	v_mov_b32_e32 v5, v3
	v_mov_b32_e32 v9, 0
	s_addc_u32 s31, s33, s31
	s_mov_b32 s3, s20
	s_mov_b32 s33, s21
	v_or_b32_e32 v6, 0x200, v0
	v_mov_b32_e32 v8, v0
	v_mov_b32_e32 v7, v9
	s_mov_b64 s[34:35], 0
	s_mov_b64 s[36:37], 0x400
	v_mov_b64_e32 v[10:11], v[4:5]
.LBB28_5:                               ; =>This Inner Loop Header: Depth=1
	v_mul_lo_u32 v18, v9, s20
	v_mul_lo_u32 v19, v8, s21
	v_mad_u64_u32 v[14:15], s[38:39], v8, s20, 0
	v_mul_lo_u32 v16, v7, s3
	v_mul_lo_u32 v17, v6, s33
	v_mad_u64_u32 v[12:13], s[38:39], v6, s3, 0
	v_add3_u32 v15, v15, v19, v18
	v_add3_u32 v13, v13, v17, v16
	v_lshl_add_u64 v[14:15], v[14:15], 2, s[30:31]
	v_lshl_add_u64 v[12:13], v[12:13], 2, s[30:31]
	global_load_dword v16, v[14:15], off
	global_load_dword v17, v[12:13], off
	v_lshl_add_u64 v[10:11], v[10:11], 0, -2
	v_cmp_eq_u64_e32 vcc, 0, v[10:11]
	v_lshlrev_b32_e32 v12, 2, v8
	v_lshlrev_b32_e32 v13, 2, v6
	v_lshl_add_u64 v[6:7], v[6:7], 0, s[36:37]
	v_lshl_add_u64 v[8:9], v[8:9], 0, s[36:37]
	s_or_b64 s[34:35], vcc, s[34:35]
	s_waitcnt vmcnt(1)
	ds_write_b32 v12, v16
	s_waitcnt vmcnt(0)
	ds_write_b32 v13, v17
	s_andn2_b64 exec, exec, s[34:35]
	s_cbranch_execnz .LBB28_5
; %bb.6:
	s_or_b64 exec, exec, s[34:35]
	v_lshlrev_b64 v[6:7], 9, v[4:5]
	v_cmp_ne_u64_e32 vcc, v[2:3], v[4:5]
	v_or_b32_e32 v6, v6, v0
	s_orn2_b64 s[30:31], vcc, exec
.LBB28_7:
	s_or_b64 exec, exec, s[28:29]
	s_and_b64 exec, exec, s[30:31]
	s_cbranch_execz .LBB28_10
; %bb.8:
	s_lshl_b64 s[22:23], s[22:23], 2
	s_lshl_b64 s[6:7], s[6:7], 2
	s_lshl_b64 s[18:19], s[18:19], 2
	s_add_u32 s3, s16, s18
	s_addc_u32 s16, s17, s19
	s_add_u32 s3, s3, s6
	s_addc_u32 s7, s16, s7
	v_mul_lo_u32 v4, v7, s20
	v_mul_lo_u32 v5, v6, s21
	v_mad_u64_u32 v[2:3], s[28:29], v6, s20, 0
	s_add_u32 s6, s3, s22
	v_add3_u32 v3, v3, v5, v4
	s_addc_u32 s7, s7, s23
	v_lshl_add_u64 v[2:3], v[2:3], 2, s[6:7]
	s_lshl_b64 s[6:7], s[20:21], 11
	v_lshlrev_b32_e32 v4, 2, v6
	s_mov_b64 s[16:17], 0
	s_mov_b64 s[18:19], 0x200
.LBB28_9:                               ; =>This Inner Loop Header: Depth=1
	global_load_dword v5, v[2:3], off
	v_lshl_add_u64 v[6:7], v[6:7], 0, s[18:19]
	v_cmp_le_i64_e32 vcc, s[14:15], v[6:7]
	v_lshl_add_u64 v[2:3], v[2:3], 0, s[6:7]
	s_or_b64 s[16:17], vcc, s[16:17]
	s_waitcnt vmcnt(0)
	ds_write_b32 v4, v5
	v_add_u32_e32 v4, 0x800, v4
	s_andn2_b64 exec, exec, s[16:17]
	s_cbranch_execnz .LBB28_9
.LBB28_10:
	s_or_b64 exec, exec, s[4:5]
	v_mov_b64_e32 v[2:3], s[10:11]
	v_cmp_le_i64_e32 vcc, s[12:13], v[2:3]
	s_waitcnt lgkmcnt(0)
	s_barrier
	s_cbranch_vccnz .LBB28_30
; %bb.11:
	s_load_dwordx8 s[16:23], s[0:1], 0x40
	s_mul_i32 s3, s27, s2
	v_and_b32_e32 v2, 63, v0
	v_mbcnt_lo_u32_b32 v6, -1, 0
	v_mbcnt_hi_u32_b32 v17, -1, v6
	s_waitcnt lgkmcnt(0)
	s_mul_i32 s1, s23, s2
	s_mul_hi_u32 s4, s22, s2
	s_mul_i32 s0, s22, s2
	s_add_i32 s1, s4, s1
	s_lshl_b64 s[22:23], s[0:1], 2
	s_add_u32 s0, s16, s22
	s_addc_u32 s1, s17, s23
	s_lshl_b64 s[34:35], s[18:19], 2
	s_add_u32 s28, s0, s34
	s_mul_hi_u32 s0, s26, s2
	s_addc_u32 s29, s1, s35
	s_add_i32 s1, s0, s3
	s_mul_i32 s0, s26, s2
	s_lshl_b64 s[0:1], s[0:1], 2
	s_add_u32 s0, s24, s0
	s_addc_u32 s1, s25, s1
	v_cmp_eq_u32_e64 s[4:5], 0, v2
	v_mad_u64_u32 v[2:3], s[24:25], s20, v0, 0
	v_mov_b32_e32 v4, v3
	s_cmp_gt_i32 s14, 1
	v_mad_u64_u32 v[4:5], s[24:25], s21, v0, v[4:5]
	s_cselect_b64 s[18:19], -1, 0
	s_lshl_b32 s30, s20, 9
	s_lshl_b64 s[24:25], s[10:11], 2
	s_add_u32 s16, s16, s24
	s_addc_u32 s17, s17, s25
	s_add_u32 s16, s16, s34
	s_addc_u32 s17, s17, s35
	s_add_u32 s16, s16, s22
	v_mov_b32_e32 v3, v4
	s_addc_u32 s17, s17, s23
	v_mov_b32_e32 v6, 0x80
	v_cmp_gt_i32_e64 s[2:3], s14, v0
	v_lshrrev_b32_e32 v10, 4, v0
	v_cmp_eq_u32_e64 s[6:7], 0, v0
	v_lshlrev_b32_e32 v11, 2, v0
	v_mul_lo_u32 v12, v0, s20
	v_lshl_add_u64 v[2:3], v[2:3], 2, s[16:17]
	s_lshl_b64 s[16:17], s[20:21], 11
	v_mov_b32_e32 v13, 0x2004
	v_mov_b32_e32 v14, 0x200c
	;; [unrolled: 1-line block ×4, first 2 shown]
	s_mov_b64 s[20:21], 0x200
	s_mov_b64 s[22:23], 0x100
	v_mov_b64_e32 v[4:5], s[12:13]
	v_and_b32_e32 v18, 63, v17
	v_lshl_or_b32 v19, v17, 2, v6
	s_branch .LBB28_13
.LBB28_12:                              ;   in Loop: Header=BB28_13 Depth=1
	s_or_b64 exec, exec, s[12:13]
	s_add_u32 s10, s10, 64
	s_addc_u32 s11, s11, 0
	v_cmp_ge_i64_e32 vcc, s[10:11], v[4:5]
	v_lshl_add_u64 v[2:3], v[2:3], 0, s[22:23]
	s_cbranch_vccnz .LBB28_30
.LBB28_13:                              ; =>This Loop Header: Depth=1
                                        ;     Child Loop BB28_15 Depth 2
                                        ;     Child Loop BB28_29 Depth 2
	v_mov_b32_e32 v8, 0
	s_and_saveexec_b64 s[12:13], s[2:3]
	s_cbranch_execz .LBB28_17
; %bb.14:                               ;   in Loop: Header=BB28_13 Depth=1
	s_lshl_b64 s[24:25], s[10:11], 2
	s_add_u32 s24, s28, s24
	s_addc_u32 s25, s29, s25
	v_mov_b32_e32 v8, 0
	s_mov_b64 s[26:27], 0
	v_mov_b32_e32 v6, v12
	v_mov_b32_e32 v9, v11
	;; [unrolled: 1-line block ×3, first 2 shown]
.LBB28_15:                              ;   Parent Loop BB28_13 Depth=1
                                        ; =>  This Inner Loop Header: Depth=2
	v_ashrrev_i32_e32 v7, 31, v6
	v_lshl_add_u64 v[22:23], v[6:7], 2, s[24:25]
	global_load_dword v7, v[22:23], off
	ds_read_b32 v21, v9
	v_add_u32_e32 v20, 0x200, v20
	v_cmp_le_i32_e32 vcc, s14, v20
	v_add_u32_e32 v9, 0x800, v9
	v_add_u32_e32 v6, s30, v6
	s_or_b64 s[26:27], vcc, s[26:27]
	s_waitcnt vmcnt(0) lgkmcnt(0)
	v_fmac_f32_e32 v8, v21, v7
	s_andn2_b64 exec, exec, s[26:27]
	s_cbranch_execnz .LBB28_15
; %bb.16:                               ;   in Loop: Header=BB28_13 Depth=1
	s_or_b64 exec, exec, s[26:27]
.LBB28_17:                              ;   in Loop: Header=BB28_13 Depth=1
	s_or_b64 exec, exec, s[12:13]
	s_and_b64 vcc, exec, s[18:19]
	s_cbranch_vccz .LBB28_24
; %bb.18:                               ;   in Loop: Header=BB28_13 Depth=1
	v_cmp_ne_u32_e32 vcc, 63, v18
	s_nop 1
	v_addc_co_u32_e32 v6, vcc, 0, v17, vcc
	v_lshlrev_b32_e32 v6, 2, v6
	ds_bpermute_b32 v6, v6, v8
	v_cmp_gt_u32_e32 vcc, 62, v18
	s_waitcnt lgkmcnt(0)
	v_add_f32_e32 v6, v8, v6
	v_cndmask_b32_e64 v7, 0, 2, vcc
	v_add_lshl_u32 v7, v7, v17, 2
	ds_bpermute_b32 v7, v7, v6
	v_cmp_gt_u32_e32 vcc, 60, v18
	s_waitcnt lgkmcnt(0)
	v_add_f32_e32 v6, v6, v7
	v_cndmask_b32_e64 v9, 0, 4, vcc
	v_add_lshl_u32 v9, v9, v17, 2
	ds_bpermute_b32 v7, v9, v6
	v_cmp_gt_u32_e32 vcc, 56, v18
	s_waitcnt lgkmcnt(0)
	v_add_f32_e32 v6, v6, v7
	v_cndmask_b32_e64 v9, 0, 8, vcc
	v_add_lshl_u32 v9, v9, v17, 2
	ds_bpermute_b32 v7, v9, v6
	v_cmp_gt_u32_e32 vcc, 48, v18
	s_waitcnt lgkmcnt(0)
	v_add_f32_e32 v6, v6, v7
	v_cndmask_b32_e64 v9, 0, 16, vcc
	v_add_lshl_u32 v7, v9, v17, 2
	ds_bpermute_b32 v7, v7, v6
	s_waitcnt lgkmcnt(0)
	v_add_f32_e32 v6, v6, v7
	ds_bpermute_b32 v7, v19, v6
	s_waitcnt lgkmcnt(0)
	v_add_f32_e32 v6, v6, v7
	s_and_saveexec_b64 s[12:13], s[4:5]
; %bb.19:                               ;   in Loop: Header=BB28_13 Depth=1
	ds_write_b32 v10, v6 offset:8192
; %bb.20:                               ;   in Loop: Header=BB28_13 Depth=1
	s_or_b64 exec, exec, s[12:13]
	s_mov_b64 s[24:25], 0
	s_mov_b64 s[12:13], 0
	s_waitcnt lgkmcnt(0)
	s_barrier
                                        ; implicit-def: $vgpr7
	s_and_saveexec_b64 s[26:27], s[6:7]
	s_xor_b64 s[26:27], exec, s[26:27]
	s_cbranch_execz .LBB28_22
; %bb.21:                               ;   in Loop: Header=BB28_13 Depth=1
	ds_read2_b32 v[20:21], v13 offset1:1
	ds_read2_b32 v[22:23], v14 offset1:1
	ds_read2_b32 v[24:25], v15 offset1:1
	ds_read_b32 v7, v16 offset:8220
	s_mov_b64 s[12:13], exec
	s_waitcnt lgkmcnt(3)
	v_add_f32_e32 v6, v6, v20
	v_add_f32_e32 v6, v6, v21
	s_waitcnt lgkmcnt(2)
	v_add_f32_e32 v6, v6, v22
	v_add_f32_e32 v6, v6, v23
	;; [unrolled: 3-line block ×3, first 2 shown]
	s_waitcnt lgkmcnt(0)
	v_add_f32_e32 v7, v6, v7
.LBB28_22:                              ;   in Loop: Header=BB28_13 Depth=1
	s_or_b64 exec, exec, s[26:27]
	s_and_b64 vcc, exec, s[24:25]
	s_cbranch_vccnz .LBB28_25
.LBB28_23:                              ;   in Loop: Header=BB28_13 Depth=1
	v_mov_b32_e32 v8, v7
	s_and_saveexec_b64 s[24:25], s[12:13]
	s_cbranch_execnz .LBB28_26
	s_branch .LBB28_27
.LBB28_24:                              ;   in Loop: Header=BB28_13 Depth=1
	s_mov_b64 s[12:13], 0
                                        ; implicit-def: $vgpr7
	s_cbranch_execz .LBB28_23
.LBB28_25:                              ;   in Loop: Header=BB28_13 Depth=1
	s_andn2_b64 s[12:13], s[12:13], exec
	s_and_b64 s[24:25], s[6:7], exec
	s_or_b64 s[12:13], s[12:13], s[24:25]
	s_and_saveexec_b64 s[24:25], s[12:13]
.LBB28_26:                              ;   in Loop: Header=BB28_13 Depth=1
	ds_write_b32 v16, v8 offset:8192
.LBB28_27:                              ;   in Loop: Header=BB28_13 Depth=1
	s_or_b64 exec, exec, s[24:25]
	s_waitcnt lgkmcnt(0)
	s_barrier
	s_and_saveexec_b64 s[12:13], s[8:9]
	s_cbranch_execz .LBB28_12
; %bb.28:                               ;   in Loop: Header=BB28_13 Depth=1
	global_load_dword v8, v16, s[0:1]
	ds_read_b32 v9, v16 offset:8192
	s_mov_b64 s[24:25], 0
	v_mov_b32_e32 v20, v11
	v_mov_b64_e32 v[6:7], v[2:3]
	s_waitcnt vmcnt(0) lgkmcnt(0)
	v_mul_f32_e64 v21, v9, -v8
	v_mov_b64_e32 v[8:9], v[0:1]
.LBB28_29:                              ;   Parent Loop BB28_13 Depth=1
                                        ; =>  This Inner Loop Header: Depth=2
	global_load_dword v22, v[6:7], off
	ds_read_b32 v23, v20
	v_lshl_add_u64 v[8:9], v[8:9], 0, s[20:21]
	v_cmp_le_i64_e32 vcc, s[14:15], v[8:9]
	s_or_b64 s[24:25], vcc, s[24:25]
	v_add_u32_e32 v20, 0x800, v20
	s_waitcnt vmcnt(0) lgkmcnt(0)
	v_fmac_f32_e32 v22, v21, v23
	global_store_dword v[6:7], v22, off
	v_lshl_add_u64 v[6:7], v[6:7], 0, s[16:17]
	s_andn2_b64 exec, exec, s[24:25]
	s_cbranch_execnz .LBB28_29
	s_branch .LBB28_12
.LBB28_30:
	s_endpgm
	.section	.rodata,"a",@progbits
	.p2align	6, 0x0
	.amdhsa_kernel _ZN9rocsolver6v33100L23larf_right_kernel_smallILi512EflPfEEvT1_S3_T2_lS3_lPKT0_lS4_lS3_l
		.amdhsa_group_segment_fixed_size 8224
		.amdhsa_private_segment_fixed_size 0
		.amdhsa_kernarg_size 96
		.amdhsa_user_sgpr_count 2
		.amdhsa_user_sgpr_dispatch_ptr 0
		.amdhsa_user_sgpr_queue_ptr 0
		.amdhsa_user_sgpr_kernarg_segment_ptr 1
		.amdhsa_user_sgpr_dispatch_id 0
		.amdhsa_user_sgpr_kernarg_preload_length 0
		.amdhsa_user_sgpr_kernarg_preload_offset 0
		.amdhsa_user_sgpr_private_segment_size 0
		.amdhsa_uses_dynamic_stack 0
		.amdhsa_enable_private_segment 0
		.amdhsa_system_sgpr_workgroup_id_x 1
		.amdhsa_system_sgpr_workgroup_id_y 1
		.amdhsa_system_sgpr_workgroup_id_z 0
		.amdhsa_system_sgpr_workgroup_info 0
		.amdhsa_system_vgpr_workitem_id 0
		.amdhsa_next_free_vgpr 26
		.amdhsa_next_free_sgpr 40
		.amdhsa_accum_offset 28
		.amdhsa_reserve_vcc 1
		.amdhsa_float_round_mode_32 0
		.amdhsa_float_round_mode_16_64 0
		.amdhsa_float_denorm_mode_32 3
		.amdhsa_float_denorm_mode_16_64 3
		.amdhsa_dx10_clamp 1
		.amdhsa_ieee_mode 1
		.amdhsa_fp16_overflow 0
		.amdhsa_tg_split 0
		.amdhsa_exception_fp_ieee_invalid_op 0
		.amdhsa_exception_fp_denorm_src 0
		.amdhsa_exception_fp_ieee_div_zero 0
		.amdhsa_exception_fp_ieee_overflow 0
		.amdhsa_exception_fp_ieee_underflow 0
		.amdhsa_exception_fp_ieee_inexact 0
		.amdhsa_exception_int_div_zero 0
	.end_amdhsa_kernel
	.section	.text._ZN9rocsolver6v33100L23larf_right_kernel_smallILi512EflPfEEvT1_S3_T2_lS3_lPKT0_lS4_lS3_l,"axG",@progbits,_ZN9rocsolver6v33100L23larf_right_kernel_smallILi512EflPfEEvT1_S3_T2_lS3_lPKT0_lS4_lS3_l,comdat
.Lfunc_end28:
	.size	_ZN9rocsolver6v33100L23larf_right_kernel_smallILi512EflPfEEvT1_S3_T2_lS3_lPKT0_lS4_lS3_l, .Lfunc_end28-_ZN9rocsolver6v33100L23larf_right_kernel_smallILi512EflPfEEvT1_S3_T2_lS3_lPKT0_lS4_lS3_l
                                        ; -- End function
	.set _ZN9rocsolver6v33100L23larf_right_kernel_smallILi512EflPfEEvT1_S3_T2_lS3_lPKT0_lS4_lS3_l.num_vgpr, 26
	.set _ZN9rocsolver6v33100L23larf_right_kernel_smallILi512EflPfEEvT1_S3_T2_lS3_lPKT0_lS4_lS3_l.num_agpr, 0
	.set _ZN9rocsolver6v33100L23larf_right_kernel_smallILi512EflPfEEvT1_S3_T2_lS3_lPKT0_lS4_lS3_l.numbered_sgpr, 40
	.set _ZN9rocsolver6v33100L23larf_right_kernel_smallILi512EflPfEEvT1_S3_T2_lS3_lPKT0_lS4_lS3_l.num_named_barrier, 0
	.set _ZN9rocsolver6v33100L23larf_right_kernel_smallILi512EflPfEEvT1_S3_T2_lS3_lPKT0_lS4_lS3_l.private_seg_size, 0
	.set _ZN9rocsolver6v33100L23larf_right_kernel_smallILi512EflPfEEvT1_S3_T2_lS3_lPKT0_lS4_lS3_l.uses_vcc, 1
	.set _ZN9rocsolver6v33100L23larf_right_kernel_smallILi512EflPfEEvT1_S3_T2_lS3_lPKT0_lS4_lS3_l.uses_flat_scratch, 0
	.set _ZN9rocsolver6v33100L23larf_right_kernel_smallILi512EflPfEEvT1_S3_T2_lS3_lPKT0_lS4_lS3_l.has_dyn_sized_stack, 0
	.set _ZN9rocsolver6v33100L23larf_right_kernel_smallILi512EflPfEEvT1_S3_T2_lS3_lPKT0_lS4_lS3_l.has_recursion, 0
	.set _ZN9rocsolver6v33100L23larf_right_kernel_smallILi512EflPfEEvT1_S3_T2_lS3_lPKT0_lS4_lS3_l.has_indirect_call, 0
	.section	.AMDGPU.csdata,"",@progbits
; Kernel info:
; codeLenInByte = 1608
; TotalNumSgprs: 46
; NumVgprs: 26
; NumAgprs: 0
; TotalNumVgprs: 26
; ScratchSize: 0
; MemoryBound: 0
; FloatMode: 240
; IeeeMode: 1
; LDSByteSize: 8224 bytes/workgroup (compile time only)
; SGPRBlocks: 5
; VGPRBlocks: 3
; NumSGPRsForWavesPerEU: 46
; NumVGPRsForWavesPerEU: 26
; AccumOffset: 28
; Occupancy: 8
; WaveLimiterHint : 0
; COMPUTE_PGM_RSRC2:SCRATCH_EN: 0
; COMPUTE_PGM_RSRC2:USER_SGPR: 2
; COMPUTE_PGM_RSRC2:TRAP_HANDLER: 0
; COMPUTE_PGM_RSRC2:TGID_X_EN: 1
; COMPUTE_PGM_RSRC2:TGID_Y_EN: 1
; COMPUTE_PGM_RSRC2:TGID_Z_EN: 0
; COMPUTE_PGM_RSRC2:TIDIG_COMP_CNT: 0
; COMPUTE_PGM_RSRC3_GFX90A:ACCUM_OFFSET: 6
; COMPUTE_PGM_RSRC3_GFX90A:TG_SPLIT: 0
	.section	.text._ZN9rocsolver6v33100L23larf_right_kernel_smallILi1024EflPfEEvT1_S3_T2_lS3_lPKT0_lS4_lS3_l,"axG",@progbits,_ZN9rocsolver6v33100L23larf_right_kernel_smallILi1024EflPfEEvT1_S3_T2_lS3_lPKT0_lS4_lS3_l,comdat
	.globl	_ZN9rocsolver6v33100L23larf_right_kernel_smallILi1024EflPfEEvT1_S3_T2_lS3_lPKT0_lS4_lS3_l ; -- Begin function _ZN9rocsolver6v33100L23larf_right_kernel_smallILi1024EflPfEEvT1_S3_T2_lS3_lPKT0_lS4_lS3_l
	.p2align	8
	.type	_ZN9rocsolver6v33100L23larf_right_kernel_smallILi1024EflPfEEvT1_S3_T2_lS3_lPKT0_lS4_lS3_l,@function
_ZN9rocsolver6v33100L23larf_right_kernel_smallILi1024EflPfEEvT1_S3_T2_lS3_lPKT0_lS4_lS3_l: ; @_ZN9rocsolver6v33100L23larf_right_kernel_smallILi1024EflPfEEvT1_S3_T2_lS3_lPKT0_lS4_lS3_l
; %bb.0:
	s_load_dwordx16 s[12:27], s[0:1], 0x0
	s_mov_b32 s10, s3
	s_mov_b64 s[6:7], 0
	s_waitcnt lgkmcnt(0)
	v_cmp_gt_i64_e64 s[4:5], s[20:21], 0
	s_and_b64 vcc, exec, s[4:5]
	s_cbranch_vccnz .LBB29_2
; %bb.1:
	s_sub_u32 s3, 1, s14
	s_subb_u32 s4, 0, s15
	s_mul_i32 s4, s20, s4
	s_mul_hi_u32 s5, s20, s3
	s_add_i32 s4, s5, s4
	s_mul_i32 s5, s21, s3
	s_add_i32 s7, s4, s5
	s_mul_i32 s6, s20, s3
.LBB29_2:
	v_mov_b32_e32 v1, 0
	s_mov_b32 s11, 0
	v_cmp_gt_i64_e64 s[8:9], s[14:15], v[0:1]
	s_and_saveexec_b64 s[4:5], s[8:9]
	s_cbranch_execz .LBB29_10
; %bb.3:
	v_mov_b32_e32 v3, -1
	v_not_b32_e32 v2, v0
	s_mul_i32 s3, s23, s2
	s_mul_hi_u32 s23, s22, s2
	v_lshl_add_u64 v[4:5], s[14:15], 0, v[2:3]
	s_mov_b64 s[28:29], 0x3ff
	s_add_i32 s23, s23, s3
	s_mul_i32 s22, s22, s2
	v_cmp_lt_u64_e32 vcc, s[28:29], v[4:5]
	s_mov_b64 s[30:31], -1
	v_mov_b64_e32 v[2:3], v[0:1]
	s_and_saveexec_b64 s[28:29], vcc
	s_cbranch_execz .LBB29_7
; %bb.4:
	s_lshl_b64 s[30:31], s[22:23], 2
	s_add_u32 s3, s16, s30
	s_addc_u32 s33, s17, s31
	s_lshl_b64 s[30:31], s[18:19], 2
	s_add_u32 s3, s3, s30
	v_lshrrev_b64 v[2:3], 10, v[4:5]
	s_addc_u32 s33, s33, s31
	s_lshl_b64 s[30:31], s[6:7], 2
	v_lshl_add_u64 v[6:7], v[2:3], 0, 1
	v_or_b32_e32 v2, 0x400, v0
	v_mov_b32_e32 v3, v1
	s_add_u32 s30, s3, s30
	v_and_b32_e32 v8, -2, v6
	v_mov_b32_e32 v9, v7
	v_mov_b64_e32 v[4:5], v[2:3]
	s_addc_u32 s31, s33, s31
	s_mov_b32 s3, s20
	s_mov_b32 s33, s21
	s_mov_b64 s[34:35], 0
	s_mov_b64 s[36:37], 0x800
	v_mov_b64_e32 v[10:11], v[8:9]
	v_mov_b64_e32 v[2:3], v[0:1]
.LBB29_5:                               ; =>This Inner Loop Header: Depth=1
	v_mul_lo_u32 v18, v3, s20
	v_mul_lo_u32 v19, v2, s21
	v_mad_u64_u32 v[14:15], s[38:39], v2, s20, 0
	v_mul_lo_u32 v16, v5, s3
	v_mul_lo_u32 v17, v4, s33
	v_mad_u64_u32 v[12:13], s[38:39], v4, s3, 0
	v_add3_u32 v15, v15, v19, v18
	v_add3_u32 v13, v13, v17, v16
	v_lshl_add_u64 v[14:15], v[14:15], 2, s[30:31]
	v_lshl_add_u64 v[12:13], v[12:13], 2, s[30:31]
	global_load_dword v16, v[14:15], off
	global_load_dword v17, v[12:13], off
	v_lshl_add_u64 v[10:11], v[10:11], 0, -2
	v_cmp_eq_u64_e32 vcc, 0, v[10:11]
	v_lshlrev_b32_e32 v12, 2, v2
	v_lshlrev_b32_e32 v13, 2, v4
	v_lshl_add_u64 v[4:5], v[4:5], 0, s[36:37]
	v_lshl_add_u64 v[2:3], v[2:3], 0, s[36:37]
	s_or_b64 s[34:35], vcc, s[34:35]
	s_waitcnt vmcnt(1)
	ds_write_b32 v12, v16
	s_waitcnt vmcnt(0)
	ds_write_b32 v13, v17
	s_andn2_b64 exec, exec, s[34:35]
	s_cbranch_execnz .LBB29_5
; %bb.6:
	s_or_b64 exec, exec, s[34:35]
	v_lshlrev_b64 v[2:3], 10, v[8:9]
	v_cmp_ne_u64_e32 vcc, v[6:7], v[8:9]
	v_or_b32_e32 v2, v2, v0
	s_orn2_b64 s[30:31], vcc, exec
.LBB29_7:
	s_or_b64 exec, exec, s[28:29]
	s_and_b64 exec, exec, s[30:31]
	s_cbranch_execz .LBB29_10
; %bb.8:
	s_lshl_b64 s[22:23], s[22:23], 2
	s_lshl_b64 s[6:7], s[6:7], 2
	;; [unrolled: 1-line block ×3, first 2 shown]
	s_add_u32 s3, s16, s18
	s_addc_u32 s16, s17, s19
	s_add_u32 s3, s3, s6
	s_addc_u32 s7, s16, s7
	v_mul_lo_u32 v6, v3, s20
	v_mul_lo_u32 v7, v2, s21
	v_mad_u64_u32 v[4:5], s[28:29], v2, s20, 0
	s_add_u32 s6, s3, s22
	v_add3_u32 v5, v5, v7, v6
	s_addc_u32 s7, s7, s23
	v_lshl_add_u64 v[4:5], v[4:5], 2, s[6:7]
	s_lshl_b64 s[6:7], s[20:21], 12
	v_lshlrev_b32_e32 v6, 2, v2
	s_mov_b64 s[16:17], 0
	s_mov_b64 s[18:19], 0x400
.LBB29_9:                               ; =>This Inner Loop Header: Depth=1
	global_load_dword v7, v[4:5], off
	v_lshl_add_u64 v[2:3], v[2:3], 0, s[18:19]
	v_cmp_le_i64_e32 vcc, s[14:15], v[2:3]
	v_lshl_add_u64 v[4:5], v[4:5], 0, s[6:7]
	s_or_b64 s[16:17], vcc, s[16:17]
	s_waitcnt vmcnt(0)
	ds_write_b32 v6, v7
	v_add_u32_e32 v6, 0x1000, v6
	s_andn2_b64 exec, exec, s[16:17]
	s_cbranch_execnz .LBB29_9
.LBB29_10:
	s_or_b64 exec, exec, s[4:5]
	v_mov_b64_e32 v[2:3], s[10:11]
	v_cmp_le_i64_e32 vcc, s[12:13], v[2:3]
	s_waitcnt lgkmcnt(0)
	s_barrier
	s_cbranch_vccnz .LBB29_30
; %bb.11:
	s_load_dwordx8 s[16:23], s[0:1], 0x40
	s_mul_i32 s3, s27, s2
	v_and_b32_e32 v2, 63, v0
	v_mbcnt_lo_u32_b32 v6, -1, 0
	v_mbcnt_hi_u32_b32 v21, -1, v6
	s_waitcnt lgkmcnt(0)
	s_mul_i32 s1, s23, s2
	s_mul_hi_u32 s4, s22, s2
	s_mul_i32 s0, s22, s2
	s_add_i32 s1, s4, s1
	s_lshl_b64 s[22:23], s[0:1], 2
	s_add_u32 s0, s16, s22
	s_addc_u32 s1, s17, s23
	s_lshl_b64 s[34:35], s[18:19], 2
	s_add_u32 s28, s0, s34
	s_mul_hi_u32 s0, s26, s2
	s_addc_u32 s29, s1, s35
	s_add_i32 s1, s0, s3
	s_mul_i32 s0, s26, s2
	s_lshl_b64 s[0:1], s[0:1], 2
	s_add_u32 s0, s24, s0
	s_addc_u32 s1, s25, s1
	v_cmp_eq_u32_e64 s[4:5], 0, v2
	v_mad_u64_u32 v[2:3], s[24:25], s20, v0, 0
	v_mov_b32_e32 v4, v3
	s_cmp_gt_i32 s14, 1
	v_mad_u64_u32 v[4:5], s[24:25], s21, v0, v[4:5]
	s_cselect_b64 s[18:19], -1, 0
	s_lshl_b32 s30, s20, 10
	s_lshl_b64 s[24:25], s[10:11], 2
	s_add_u32 s16, s16, s24
	s_addc_u32 s17, s17, s25
	s_add_u32 s16, s16, s34
	s_addc_u32 s17, s17, s35
	s_add_u32 s16, s16, s22
	v_mov_b32_e32 v3, v4
	s_addc_u32 s17, s17, s23
	v_mov_b32_e32 v6, 0x80
	v_cmp_gt_i32_e64 s[2:3], s14, v0
	v_lshrrev_b32_e32 v10, 4, v0
	v_cmp_eq_u32_e64 s[6:7], 0, v0
	v_lshlrev_b32_e32 v11, 2, v0
	v_mul_lo_u32 v12, v0, s20
	v_lshl_add_u64 v[2:3], v[2:3], 2, s[16:17]
	s_lshl_b64 s[16:17], s[20:21], 12
	v_mov_b32_e32 v13, 0x2004
	v_mov_b32_e32 v14, 0x200c
	;; [unrolled: 1-line block ×8, first 2 shown]
	s_mov_b64 s[20:21], 0x400
	s_mov_b64 s[22:23], 0x100
	v_mov_b64_e32 v[4:5], s[12:13]
	v_and_b32_e32 v22, 63, v21
	v_lshl_or_b32 v23, v21, 2, v6
	s_branch .LBB29_13
.LBB29_12:                              ;   in Loop: Header=BB29_13 Depth=1
	s_or_b64 exec, exec, s[12:13]
	s_add_u32 s10, s10, 64
	s_addc_u32 s11, s11, 0
	v_cmp_ge_i64_e32 vcc, s[10:11], v[4:5]
	v_lshl_add_u64 v[2:3], v[2:3], 0, s[22:23]
	s_cbranch_vccnz .LBB29_30
.LBB29_13:                              ; =>This Loop Header: Depth=1
                                        ;     Child Loop BB29_15 Depth 2
                                        ;     Child Loop BB29_29 Depth 2
	v_mov_b32_e32 v8, 0
	s_and_saveexec_b64 s[12:13], s[2:3]
	s_cbranch_execz .LBB29_17
; %bb.14:                               ;   in Loop: Header=BB29_13 Depth=1
	s_lshl_b64 s[24:25], s[10:11], 2
	s_add_u32 s24, s28, s24
	s_addc_u32 s25, s29, s25
	v_mov_b32_e32 v8, 0
	s_mov_b64 s[26:27], 0
	v_mov_b32_e32 v6, v12
	v_mov_b32_e32 v9, v11
	;; [unrolled: 1-line block ×3, first 2 shown]
.LBB29_15:                              ;   Parent Loop BB29_13 Depth=1
                                        ; =>  This Inner Loop Header: Depth=2
	v_ashrrev_i32_e32 v7, 31, v6
	v_lshl_add_u64 v[26:27], v[6:7], 2, s[24:25]
	global_load_dword v7, v[26:27], off
	ds_read_b32 v25, v9
	v_add_u32_e32 v24, 0x400, v24
	v_cmp_le_i32_e32 vcc, s14, v24
	v_add_u32_e32 v9, 0x1000, v9
	v_add_u32_e32 v6, s30, v6
	s_or_b64 s[26:27], vcc, s[26:27]
	s_waitcnt vmcnt(0) lgkmcnt(0)
	v_fmac_f32_e32 v8, v25, v7
	s_andn2_b64 exec, exec, s[26:27]
	s_cbranch_execnz .LBB29_15
; %bb.16:                               ;   in Loop: Header=BB29_13 Depth=1
	s_or_b64 exec, exec, s[26:27]
.LBB29_17:                              ;   in Loop: Header=BB29_13 Depth=1
	s_or_b64 exec, exec, s[12:13]
	s_and_b64 vcc, exec, s[18:19]
	s_cbranch_vccz .LBB29_24
; %bb.18:                               ;   in Loop: Header=BB29_13 Depth=1
	v_cmp_ne_u32_e32 vcc, 63, v22
	s_nop 1
	v_addc_co_u32_e32 v6, vcc, 0, v21, vcc
	v_lshlrev_b32_e32 v6, 2, v6
	ds_bpermute_b32 v6, v6, v8
	v_cmp_gt_u32_e32 vcc, 62, v22
	s_waitcnt lgkmcnt(0)
	v_add_f32_e32 v6, v8, v6
	v_cndmask_b32_e64 v7, 0, 2, vcc
	v_add_lshl_u32 v7, v7, v21, 2
	ds_bpermute_b32 v7, v7, v6
	v_cmp_gt_u32_e32 vcc, 60, v22
	s_waitcnt lgkmcnt(0)
	v_add_f32_e32 v6, v6, v7
	v_cndmask_b32_e64 v9, 0, 4, vcc
	v_add_lshl_u32 v9, v9, v21, 2
	;; [unrolled: 6-line block ×4, first 2 shown]
	ds_bpermute_b32 v7, v7, v6
	s_waitcnt lgkmcnt(0)
	v_add_f32_e32 v6, v6, v7
	ds_bpermute_b32 v7, v23, v6
	s_waitcnt lgkmcnt(0)
	v_add_f32_e32 v6, v6, v7
	s_and_saveexec_b64 s[12:13], s[4:5]
; %bb.19:                               ;   in Loop: Header=BB29_13 Depth=1
	ds_write_b32 v10, v6 offset:8192
; %bb.20:                               ;   in Loop: Header=BB29_13 Depth=1
	s_or_b64 exec, exec, s[12:13]
	s_mov_b64 s[24:25], 0
	s_mov_b64 s[12:13], 0
	s_waitcnt lgkmcnt(0)
	s_barrier
                                        ; implicit-def: $vgpr7
	s_and_saveexec_b64 s[26:27], s[6:7]
	s_xor_b64 s[26:27], exec, s[26:27]
	s_cbranch_execz .LBB29_22
; %bb.21:                               ;   in Loop: Header=BB29_13 Depth=1
	ds_read2_b32 v[24:25], v13 offset1:1
	ds_read2_b32 v[26:27], v14 offset1:1
	;; [unrolled: 1-line block ×4, first 2 shown]
	s_mov_b64 s[12:13], exec
	s_waitcnt lgkmcnt(3)
	v_add_f32_e32 v6, v6, v24
	v_add_f32_e32 v6, v6, v25
	s_waitcnt lgkmcnt(2)
	v_add_f32_e32 v6, v6, v26
	v_add_f32_e32 v6, v6, v27
	s_waitcnt lgkmcnt(1)
	v_add_f32_e32 v6, v6, v28
	v_add_f32_e32 v6, v6, v29
	s_waitcnt lgkmcnt(0)
	v_add_f32_e32 v9, v6, v30
	ds_read2_b32 v[6:7], v17 offset1:1
	v_add_f32_e32 v9, v9, v31
	ds_read2_b32 v[24:25], v18 offset1:1
	ds_read2_b32 v[26:27], v19 offset1:1
	ds_read_b32 v28, v20 offset:8252
	s_waitcnt lgkmcnt(3)
	v_add_f32_e32 v6, v9, v6
	v_add_f32_e32 v6, v6, v7
	s_waitcnt lgkmcnt(2)
	v_add_f32_e32 v6, v6, v24
	v_add_f32_e32 v6, v6, v25
	s_waitcnt lgkmcnt(1)
	v_add_f32_e32 v6, v6, v26
	v_add_f32_e32 v6, v6, v27
	s_waitcnt lgkmcnt(0)
	v_add_f32_e32 v7, v6, v28
.LBB29_22:                              ;   in Loop: Header=BB29_13 Depth=1
	s_or_b64 exec, exec, s[26:27]
	s_and_b64 vcc, exec, s[24:25]
	s_cbranch_vccnz .LBB29_25
.LBB29_23:                              ;   in Loop: Header=BB29_13 Depth=1
	v_mov_b32_e32 v8, v7
	s_and_saveexec_b64 s[24:25], s[12:13]
	s_cbranch_execnz .LBB29_26
	s_branch .LBB29_27
.LBB29_24:                              ;   in Loop: Header=BB29_13 Depth=1
	s_mov_b64 s[12:13], 0
                                        ; implicit-def: $vgpr7
	s_cbranch_execz .LBB29_23
.LBB29_25:                              ;   in Loop: Header=BB29_13 Depth=1
	s_andn2_b64 s[12:13], s[12:13], exec
	s_and_b64 s[24:25], s[6:7], exec
	s_or_b64 s[12:13], s[12:13], s[24:25]
	s_and_saveexec_b64 s[24:25], s[12:13]
.LBB29_26:                              ;   in Loop: Header=BB29_13 Depth=1
	ds_write_b32 v20, v8 offset:8192
.LBB29_27:                              ;   in Loop: Header=BB29_13 Depth=1
	s_or_b64 exec, exec, s[24:25]
	s_waitcnt lgkmcnt(0)
	s_barrier
	s_and_saveexec_b64 s[12:13], s[8:9]
	s_cbranch_execz .LBB29_12
; %bb.28:                               ;   in Loop: Header=BB29_13 Depth=1
	global_load_dword v8, v20, s[0:1]
	ds_read_b32 v9, v20 offset:8192
	s_mov_b64 s[24:25], 0
	v_mov_b32_e32 v24, v11
	v_mov_b64_e32 v[6:7], v[2:3]
	s_waitcnt vmcnt(0) lgkmcnt(0)
	v_mul_f32_e64 v25, v9, -v8
	v_mov_b64_e32 v[8:9], v[0:1]
.LBB29_29:                              ;   Parent Loop BB29_13 Depth=1
                                        ; =>  This Inner Loop Header: Depth=2
	global_load_dword v26, v[6:7], off
	ds_read_b32 v27, v24
	v_lshl_add_u64 v[8:9], v[8:9], 0, s[20:21]
	v_cmp_le_i64_e32 vcc, s[14:15], v[8:9]
	s_or_b64 s[24:25], vcc, s[24:25]
	v_add_u32_e32 v24, 0x1000, v24
	s_waitcnt vmcnt(0) lgkmcnt(0)
	v_fmac_f32_e32 v26, v25, v27
	global_store_dword v[6:7], v26, off
	v_lshl_add_u64 v[6:7], v[6:7], 0, s[16:17]
	s_andn2_b64 exec, exec, s[24:25]
	s_cbranch_execnz .LBB29_29
	s_branch .LBB29_12
.LBB29_30:
	s_endpgm
	.section	.rodata,"a",@progbits
	.p2align	6, 0x0
	.amdhsa_kernel _ZN9rocsolver6v33100L23larf_right_kernel_smallILi1024EflPfEEvT1_S3_T2_lS3_lPKT0_lS4_lS3_l
		.amdhsa_group_segment_fixed_size 8256
		.amdhsa_private_segment_fixed_size 0
		.amdhsa_kernarg_size 96
		.amdhsa_user_sgpr_count 2
		.amdhsa_user_sgpr_dispatch_ptr 0
		.amdhsa_user_sgpr_queue_ptr 0
		.amdhsa_user_sgpr_kernarg_segment_ptr 1
		.amdhsa_user_sgpr_dispatch_id 0
		.amdhsa_user_sgpr_kernarg_preload_length 0
		.amdhsa_user_sgpr_kernarg_preload_offset 0
		.amdhsa_user_sgpr_private_segment_size 0
		.amdhsa_uses_dynamic_stack 0
		.amdhsa_enable_private_segment 0
		.amdhsa_system_sgpr_workgroup_id_x 1
		.amdhsa_system_sgpr_workgroup_id_y 1
		.amdhsa_system_sgpr_workgroup_id_z 0
		.amdhsa_system_sgpr_workgroup_info 0
		.amdhsa_system_vgpr_workitem_id 0
		.amdhsa_next_free_vgpr 32
		.amdhsa_next_free_sgpr 40
		.amdhsa_accum_offset 32
		.amdhsa_reserve_vcc 1
		.amdhsa_float_round_mode_32 0
		.amdhsa_float_round_mode_16_64 0
		.amdhsa_float_denorm_mode_32 3
		.amdhsa_float_denorm_mode_16_64 3
		.amdhsa_dx10_clamp 1
		.amdhsa_ieee_mode 1
		.amdhsa_fp16_overflow 0
		.amdhsa_tg_split 0
		.amdhsa_exception_fp_ieee_invalid_op 0
		.amdhsa_exception_fp_denorm_src 0
		.amdhsa_exception_fp_ieee_div_zero 0
		.amdhsa_exception_fp_ieee_overflow 0
		.amdhsa_exception_fp_ieee_underflow 0
		.amdhsa_exception_fp_ieee_inexact 0
		.amdhsa_exception_int_div_zero 0
	.end_amdhsa_kernel
	.section	.text._ZN9rocsolver6v33100L23larf_right_kernel_smallILi1024EflPfEEvT1_S3_T2_lS3_lPKT0_lS4_lS3_l,"axG",@progbits,_ZN9rocsolver6v33100L23larf_right_kernel_smallILi1024EflPfEEvT1_S3_T2_lS3_lPKT0_lS4_lS3_l,comdat
.Lfunc_end29:
	.size	_ZN9rocsolver6v33100L23larf_right_kernel_smallILi1024EflPfEEvT1_S3_T2_lS3_lPKT0_lS4_lS3_l, .Lfunc_end29-_ZN9rocsolver6v33100L23larf_right_kernel_smallILi1024EflPfEEvT1_S3_T2_lS3_lPKT0_lS4_lS3_l
                                        ; -- End function
	.set _ZN9rocsolver6v33100L23larf_right_kernel_smallILi1024EflPfEEvT1_S3_T2_lS3_lPKT0_lS4_lS3_l.num_vgpr, 32
	.set _ZN9rocsolver6v33100L23larf_right_kernel_smallILi1024EflPfEEvT1_S3_T2_lS3_lPKT0_lS4_lS3_l.num_agpr, 0
	.set _ZN9rocsolver6v33100L23larf_right_kernel_smallILi1024EflPfEEvT1_S3_T2_lS3_lPKT0_lS4_lS3_l.numbered_sgpr, 40
	.set _ZN9rocsolver6v33100L23larf_right_kernel_smallILi1024EflPfEEvT1_S3_T2_lS3_lPKT0_lS4_lS3_l.num_named_barrier, 0
	.set _ZN9rocsolver6v33100L23larf_right_kernel_smallILi1024EflPfEEvT1_S3_T2_lS3_lPKT0_lS4_lS3_l.private_seg_size, 0
	.set _ZN9rocsolver6v33100L23larf_right_kernel_smallILi1024EflPfEEvT1_S3_T2_lS3_lPKT0_lS4_lS3_l.uses_vcc, 1
	.set _ZN9rocsolver6v33100L23larf_right_kernel_smallILi1024EflPfEEvT1_S3_T2_lS3_lPKT0_lS4_lS3_l.uses_flat_scratch, 0
	.set _ZN9rocsolver6v33100L23larf_right_kernel_smallILi1024EflPfEEvT1_S3_T2_lS3_lPKT0_lS4_lS3_l.has_dyn_sized_stack, 0
	.set _ZN9rocsolver6v33100L23larf_right_kernel_smallILi1024EflPfEEvT1_S3_T2_lS3_lPKT0_lS4_lS3_l.has_recursion, 0
	.set _ZN9rocsolver6v33100L23larf_right_kernel_smallILi1024EflPfEEvT1_S3_T2_lS3_lPKT0_lS4_lS3_l.has_indirect_call, 0
	.section	.AMDGPU.csdata,"",@progbits
; Kernel info:
; codeLenInByte = 1720
; TotalNumSgprs: 46
; NumVgprs: 32
; NumAgprs: 0
; TotalNumVgprs: 32
; ScratchSize: 0
; MemoryBound: 0
; FloatMode: 240
; IeeeMode: 1
; LDSByteSize: 8256 bytes/workgroup (compile time only)
; SGPRBlocks: 5
; VGPRBlocks: 3
; NumSGPRsForWavesPerEU: 46
; NumVGPRsForWavesPerEU: 32
; AccumOffset: 32
; Occupancy: 8
; WaveLimiterHint : 0
; COMPUTE_PGM_RSRC2:SCRATCH_EN: 0
; COMPUTE_PGM_RSRC2:USER_SGPR: 2
; COMPUTE_PGM_RSRC2:TRAP_HANDLER: 0
; COMPUTE_PGM_RSRC2:TGID_X_EN: 1
; COMPUTE_PGM_RSRC2:TGID_Y_EN: 1
; COMPUTE_PGM_RSRC2:TGID_Z_EN: 0
; COMPUTE_PGM_RSRC2:TIDIG_COMP_CNT: 0
; COMPUTE_PGM_RSRC3_GFX90A:ACCUM_OFFSET: 7
; COMPUTE_PGM_RSRC3_GFX90A:TG_SPLIT: 0
	.section	.text._ZN9rocsolver6v33100L22larf_left_kernel_smallILi64EflPKPfEEvT1_S5_T2_lS5_lPKT0_lS6_lS5_l,"axG",@progbits,_ZN9rocsolver6v33100L22larf_left_kernel_smallILi64EflPKPfEEvT1_S5_T2_lS5_lPKT0_lS6_lS5_l,comdat
	.globl	_ZN9rocsolver6v33100L22larf_left_kernel_smallILi64EflPKPfEEvT1_S5_T2_lS5_lPKT0_lS6_lS5_l ; -- Begin function _ZN9rocsolver6v33100L22larf_left_kernel_smallILi64EflPKPfEEvT1_S5_T2_lS5_lPKT0_lS6_lS5_l
	.p2align	8
	.type	_ZN9rocsolver6v33100L22larf_left_kernel_smallILi64EflPKPfEEvT1_S5_T2_lS5_lPKT0_lS6_lS5_l,@function
_ZN9rocsolver6v33100L22larf_left_kernel_smallILi64EflPKPfEEvT1_S5_T2_lS5_lPKT0_lS6_lS5_l: ; @_ZN9rocsolver6v33100L22larf_left_kernel_smallILi64EflPKPfEEvT1_S5_T2_lS5_lPKT0_lS6_lS5_l
; %bb.0:
	s_load_dwordx8 s[12:19], s[0:1], 0x0
	s_load_dwordx2 s[22:23], s[0:1], 0x20
	s_load_dwordx8 s[4:11], s[0:1], 0x30
	s_mov_b32 s20, s3
	s_mov_b32 s3, 0
	s_lshl_b64 s[24:25], s[2:3], 3
	s_waitcnt lgkmcnt(0)
	s_add_u32 s28, s16, s24
	s_addc_u32 s29, s17, s25
	s_add_u32 s8, s8, s24
	v_cmp_gt_i64_e64 s[16:17], s[22:23], 0
	s_addc_u32 s9, s9, s25
	s_mov_b64 s[24:25], 0
	s_and_b64 vcc, exec, s[16:17]
	s_cbranch_vccnz .LBB30_2
; %bb.1:
	s_sub_u32 s3, 1, s12
	s_subb_u32 s16, 0, s13
	s_mul_i32 s16, s22, s16
	s_mul_hi_u32 s17, s22, s3
	s_add_i32 s16, s17, s16
	s_mul_i32 s17, s23, s3
	s_add_i32 s25, s16, s17
	s_mul_i32 s24, s22, s3
.LBB30_2:
	s_load_dwordx2 s[26:27], s[8:9], 0x0
	v_mov_b32_e32 v1, 0
	v_cmp_gt_i64_e64 s[8:9], s[12:13], v[0:1]
	v_not_b32_e32 v2, v0
	s_and_saveexec_b64 s[16:17], s[8:9]
	s_cbranch_execz .LBB30_10
; %bb.3:
	s_load_dwordx2 s[28:29], s[28:29], 0x0
	v_mov_b32_e32 v3, -1
	v_lshl_add_u64 v[4:5], s[12:13], 0, v[2:3]
	v_cmp_lt_u64_e32 vcc, 63, v[4:5]
	s_mov_b64 s[34:35], -1
	v_mov_b64_e32 v[8:9], v[0:1]
	s_and_saveexec_b64 s[30:31], vcc
	s_cbranch_execz .LBB30_7
; %bb.4:
	s_lshl_b64 s[34:35], s[18:19], 2
	s_waitcnt lgkmcnt(0)
	s_add_u32 s3, s28, s34
	v_lshrrev_b64 v[4:5], 6, v[4:5]
	s_addc_u32 s21, s29, s35
	s_lshl_b64 s[34:35], s[24:25], 2
	v_lshl_add_u64 v[4:5], v[4:5], 0, 1
	s_add_u32 s34, s3, s34
	v_and_b32_e32 v6, -2, v4
	v_mov_b32_e32 v7, v5
	v_mov_b32_e32 v11, 0
	s_addc_u32 s35, s21, s35
	s_mov_b32 s3, s22
	s_mov_b32 s21, s23
	v_or_b32_e32 v8, 64, v0
	v_mov_b32_e32 v10, v0
	v_mov_b32_e32 v9, v11
	s_mov_b64 s[36:37], 0
	s_mov_b64 s[38:39], 0x80
	v_mov_b64_e32 v[12:13], v[6:7]
.LBB30_5:                               ; =>This Inner Loop Header: Depth=1
	v_mul_lo_u32 v19, v11, s22
	v_mul_lo_u32 v20, v10, s23
	v_mad_u64_u32 v[16:17], s[40:41], v10, s22, 0
	v_mul_lo_u32 v3, v9, s3
	v_mul_lo_u32 v18, v8, s21
	v_mad_u64_u32 v[14:15], s[40:41], v8, s3, 0
	v_add3_u32 v17, v17, v20, v19
	v_add3_u32 v15, v15, v18, v3
	v_lshl_add_u64 v[16:17], v[16:17], 2, s[34:35]
	v_lshl_add_u64 v[14:15], v[14:15], 2, s[34:35]
	flat_load_dword v3, v[16:17]
	flat_load_dword v18, v[14:15]
	v_lshl_add_u64 v[12:13], v[12:13], 0, -2
	v_cmp_eq_u64_e32 vcc, 0, v[12:13]
	v_lshlrev_b32_e32 v14, 2, v10
	v_lshlrev_b32_e32 v15, 2, v8
	v_lshl_add_u64 v[8:9], v[8:9], 0, s[38:39]
	v_lshl_add_u64 v[10:11], v[10:11], 0, s[38:39]
	s_or_b64 s[36:37], vcc, s[36:37]
	s_waitcnt vmcnt(0) lgkmcnt(0)
	ds_write_b32 v14, v3
	ds_write_b32 v15, v18
	s_andn2_b64 exec, exec, s[36:37]
	s_cbranch_execnz .LBB30_5
; %bb.6:
	s_or_b64 exec, exec, s[36:37]
	v_lshlrev_b64 v[8:9], 6, v[6:7]
	v_cmp_ne_u64_e32 vcc, v[4:5], v[6:7]
	v_or_b32_e32 v8, v8, v0
	s_orn2_b64 s[34:35], vcc, exec
.LBB30_7:
	s_or_b64 exec, exec, s[30:31]
	s_and_b64 exec, exec, s[34:35]
	s_cbranch_execz .LBB30_10
; %bb.8:
	s_lshl_b64 s[24:25], s[24:25], 2
	s_lshl_b64 s[18:19], s[18:19], 2
	s_waitcnt lgkmcnt(0)
	s_add_u32 s3, s28, s18
	s_addc_u32 s19, s29, s19
	v_mul_lo_u32 v3, v9, s22
	v_mul_lo_u32 v6, v8, s23
	v_mad_u64_u32 v[4:5], s[30:31], v8, s22, 0
	s_add_u32 s18, s3, s24
	v_add3_u32 v5, v5, v6, v3
	s_addc_u32 s19, s19, s25
	v_lshl_add_u64 v[4:5], v[4:5], 2, s[18:19]
	s_lshl_b64 s[18:19], s[22:23], 8
	v_lshlrev_b32_e32 v3, 2, v8
	s_mov_b64 s[22:23], 0
.LBB30_9:                               ; =>This Inner Loop Header: Depth=1
	flat_load_dword v6, v[4:5]
	v_lshl_add_u64 v[8:9], v[8:9], 0, 64
	v_cmp_le_i64_e32 vcc, s[12:13], v[8:9]
	v_lshl_add_u64 v[4:5], v[4:5], 0, s[18:19]
	s_or_b64 s[22:23], vcc, s[22:23]
	s_waitcnt vmcnt(0) lgkmcnt(0)
	ds_write_b32 v3, v6
	v_add_u32_e32 v3, 0x100, v3
	s_andn2_b64 exec, exec, s[22:23]
	s_cbranch_execnz .LBB30_9
.LBB30_10:
	s_or_b64 exec, exec, s[16:17]
	s_mov_b32 s21, 0
	v_mov_b64_e32 v[4:5], s[20:21]
	v_cmp_le_i64_e32 vcc, s[14:15], v[4:5]
	s_waitcnt lgkmcnt(0)
	; wave barrier
	s_cbranch_vccnz .LBB30_37
; %bb.11:
	s_load_dwordx2 s[22:23], s[0:1], 0x50
	s_mul_i32 s0, s7, s2
	s_mul_hi_u32 s1, s6, s2
	s_add_i32 s1, s1, s0
	s_mul_i32 s0, s6, s2
	s_lshl_b64 s[0:1], s[0:1], 2
	s_add_u32 s0, s4, s0
	s_addc_u32 s1, s5, s1
	s_cmp_gt_i32 s12, 1
	s_waitcnt lgkmcnt(0)
	s_mul_i32 s4, s23, s20
	s_mul_hi_u32 s5, s22, s20
	s_cselect_b64 s[16:17], -1, 0
	v_mov_b32_e32 v3, -1
	s_add_i32 s29, s5, s4
	s_mul_i32 s28, s22, s20
	v_lshl_add_u64 v[2:3], s[12:13], 0, v[2:3]
	s_add_u32 s4, s28, s10
	s_addc_u32 s5, s29, s11
	s_lshl_b64 s[22:23], s[22:23], 8
	v_lshrrev_b64 v[6:7], 6, v[2:3]
	s_lshl_b64 s[28:29], s[28:29], 2
	s_lshl_b64 s[10:11], s[10:11], 2
	v_lshl_add_u64 v[4:5], s[4:5], 0, v[0:1]
	v_lshl_add_u64 v[6:7], v[6:7], 0, 1
	s_mov_b64 s[4:5], 0xc0
	s_mov_b32 s6, -1
	s_add_u32 s10, s28, s10
	v_cmp_gt_u64_e64 s[24:25], s[4:5], v[2:3]
	s_mov_b64 s[4:5], 0xbf
	s_brev_b32 s7, -4
	v_and_b32_e32 v14, -2, v6
	v_mov_b32_e32 v15, v7
	s_addc_u32 s11, s29, s11
	v_cmp_lt_u64_e64 s[4:5], s[4:5], v[2:3]
	v_lshlrev_b64 v[12:13], 2, v[2:3]
	v_cmp_lt_u64_e32 vcc, s[6:7], v[2:3]
	v_lshlrev_b64 v[16:17], 6, v[14:15]
	v_mov_b32_e32 v3, 0
	v_cmp_ne_u64_e64 s[6:7], v[6:7], v[14:15]
	s_add_u32 s10, s26, s10
	v_mbcnt_lo_u32_b32 v6, -1, 0
	v_or_b32_e32 v16, v16, v0
	v_lshlrev_b32_e32 v18, 2, v0
	v_mov_b32_e32 v19, v3
	s_addc_u32 s11, s27, s11
	v_mbcnt_hi_u32_b32 v34, -1, v6
	v_mov_b32_e32 v6, 0x80
	v_cmp_gt_i32_e64 s[2:3], s12, v0
	v_cmp_eq_u32_e64 s[18:19], 0, v0
	v_lshrrev_b32_e32 v32, 4, v0
	v_lshl_add_u64 v[10:11], v[4:5], 2, s[26:27]
	v_and_b32_e32 v12, 0xffffff00, v12
	v_or_b32_e32 v4, 64, v0
	v_mov_b32_e32 v2, v0
	v_mov_b32_e32 v5, v3
	v_lshlrev_b32_e32 v33, 2, v0
	v_lshl_add_u64 v[20:21], s[10:11], 0, v[18:19]
	s_mov_b64 s[26:27], 0
	s_mov_b64 s[28:29], 0x100
	;; [unrolled: 1-line block ×4, first 2 shown]
	v_lshlrev_b64 v[22:23], 2, v[16:17]
	v_mov_b64_e32 v[24:25], s[14:15]
	v_and_b32_e32 v35, 63, v34
	v_lshl_or_b32 v36, v34, 2, v6
	s_xor_b64 s[14:15], vcc, -1
	s_branch .LBB30_13
.LBB30_12:                              ;   in Loop: Header=BB30_13 Depth=1
	s_or_b64 exec, exec, s[36:37]
	s_add_u32 s20, s20, 64
	s_addc_u32 s21, s21, 0
	s_add_u32 s26, s26, 1
	s_addc_u32 s27, s27, 0
	s_add_u32 s10, s10, s22
	v_cmp_ge_i64_e32 vcc, s[20:21], v[24:25]
	v_lshl_add_u64 v[20:21], v[20:21], 0, s[22:23]
	s_addc_u32 s11, s11, s23
	s_cbranch_vccnz .LBB30_37
.LBB30_13:                              ; =>This Loop Header: Depth=1
                                        ;     Child Loop BB30_15 Depth 2
                                        ;     Child Loop BB30_29 Depth 2
	;; [unrolled: 1-line block ×3, first 2 shown]
	v_mov_b32_e32 v8, 0
	s_and_saveexec_b64 s[36:37], s[2:3]
	s_cbranch_execz .LBB30_17
; %bb.14:                               ;   in Loop: Header=BB30_13 Depth=1
	v_mov_b32_e32 v8, 0
	s_mov_b64 s[38:39], 0
	v_mov_b64_e32 v[6:7], v[20:21]
	v_mov_b32_e32 v9, v33
	v_mov_b32_e32 v26, v0
.LBB30_15:                              ;   Parent Loop BB30_13 Depth=1
                                        ; =>  This Inner Loop Header: Depth=2
	flat_load_dword v27, v[6:7]
	ds_read_b32 v28, v9
	v_add_u32_e32 v26, 64, v26
	v_cmp_le_i32_e32 vcc, s12, v26
	v_add_u32_e32 v9, 0x100, v9
	v_lshl_add_u64 v[6:7], v[6:7], 0, s[28:29]
	s_or_b64 s[38:39], vcc, s[38:39]
	s_waitcnt vmcnt(0) lgkmcnt(0)
	v_fmac_f32_e32 v8, v28, v27
	s_andn2_b64 exec, exec, s[38:39]
	s_cbranch_execnz .LBB30_15
; %bb.16:                               ;   in Loop: Header=BB30_13 Depth=1
	s_or_b64 exec, exec, s[38:39]
.LBB30_17:                              ;   in Loop: Header=BB30_13 Depth=1
	s_or_b64 exec, exec, s[36:37]
	s_and_b64 vcc, exec, s[16:17]
	s_cbranch_vccz .LBB30_22
; %bb.18:                               ;   in Loop: Header=BB30_13 Depth=1
	v_cmp_ne_u32_e32 vcc, 63, v35
	s_nop 1
	v_addc_co_u32_e32 v6, vcc, 0, v34, vcc
	v_lshlrev_b32_e32 v6, 2, v6
	ds_bpermute_b32 v6, v6, v8
	v_cmp_gt_u32_e32 vcc, 62, v35
	s_waitcnt lgkmcnt(0)
	v_add_f32_e32 v6, v8, v6
	v_cndmask_b32_e64 v7, 0, 2, vcc
	v_add_lshl_u32 v7, v7, v34, 2
	ds_bpermute_b32 v7, v7, v6
	v_cmp_gt_u32_e32 vcc, 60, v35
	s_waitcnt lgkmcnt(0)
	v_add_f32_e32 v6, v6, v7
	v_cndmask_b32_e64 v9, 0, 4, vcc
	v_add_lshl_u32 v9, v9, v34, 2
	;; [unrolled: 6-line block ×4, first 2 shown]
	ds_bpermute_b32 v7, v7, v6
	s_waitcnt lgkmcnt(0)
	v_add_f32_e32 v6, v6, v7
	ds_bpermute_b32 v7, v36, v6
	s_waitcnt lgkmcnt(0)
	v_add_f32_e32 v6, v6, v7
	s_and_saveexec_b64 s[36:37], s[18:19]
; %bb.19:                               ;   in Loop: Header=BB30_13 Depth=1
	ds_write_b32 v32, v6 offset:8192
; %bb.20:                               ;   in Loop: Header=BB30_13 Depth=1
	s_or_b64 exec, exec, s[36:37]
	s_waitcnt lgkmcnt(0)
	; wave barrier
	s_mov_b64 s[36:37], s[18:19]
.LBB30_21:                              ;   in Loop: Header=BB30_13 Depth=1
	v_mov_b32_e32 v8, v6
	s_and_saveexec_b64 s[38:39], s[36:37]
	s_cbranch_execnz .LBB30_24
	s_branch .LBB30_25
.LBB30_22:                              ;   in Loop: Header=BB30_13 Depth=1
	s_mov_b64 s[36:37], 0
                                        ; implicit-def: $vgpr6
	s_cbranch_execz .LBB30_21
; %bb.23:                               ;   in Loop: Header=BB30_13 Depth=1
	s_andn2_b64 s[36:37], s[36:37], exec
	s_and_b64 s[38:39], s[18:19], exec
	s_or_b64 s[36:37], s[36:37], s[38:39]
	s_and_saveexec_b64 s[38:39], s[36:37]
.LBB30_24:                              ;   in Loop: Header=BB30_13 Depth=1
	ds_write_b32 v3, v8 offset:8192
.LBB30_25:                              ;   in Loop: Header=BB30_13 Depth=1
	s_or_b64 exec, exec, s[38:39]
	s_waitcnt lgkmcnt(0)
	; wave barrier
	s_and_saveexec_b64 s[36:37], s[8:9]
	s_cbranch_execz .LBB30_12
; %bb.26:                               ;   in Loop: Header=BB30_13 Depth=1
	global_load_dword v8, v3, s[0:1]
	ds_read_b32 v9, v3 offset:8192
	s_mov_b64 s[40:41], s[24:25]
	v_mov_b64_e32 v[6:7], v[0:1]
	s_waitcnt vmcnt(0) lgkmcnt(0)
	v_mul_f32_e64 v26, v9, -v8
	v_mov_b64_e32 v[8:9], v[18:19]
	s_and_saveexec_b64 s[38:39], s[4:5]
	s_cbranch_execz .LBB30_34
; %bb.27:                               ;   in Loop: Header=BB30_13 Depth=1
	s_mul_i32 s33, s23, s26
	s_mul_i32 s40, s22, s27
	v_mov_b32_e32 v6, s26
	s_add_i32 s33, s40, s33
	v_mad_u64_u32 v[6:7], s[40:41], s22, v6, v[10:11]
	v_add_u32_e32 v7, s33, v7
	v_lshl_add_u64 v[8:9], v[6:7], 0, v[12:13]
	v_cmp_ge_u64_e32 vcc, v[8:9], v[6:7]
	s_mov_b64 s[42:43], -1
	s_and_b64 s[44:45], vcc, s[14:15]
	v_mov_b64_e32 v[6:7], v[0:1]
	v_mov_b64_e32 v[8:9], v[18:19]
	s_and_saveexec_b64 s[40:41], s[44:45]
	s_cbranch_execz .LBB30_33
; %bb.28:                               ;   in Loop: Header=BB30_13 Depth=1
	v_mov_b64_e32 v[8:9], v[4:5]
	v_mov_b32_e32 v27, v26
	s_mov_b64 s[42:43], 0
	v_mov_b64_e32 v[28:29], v[14:15]
	v_mov_b64_e32 v[30:31], v[20:21]
	;; [unrolled: 1-line block ×3, first 2 shown]
.LBB30_29:                              ;   Parent Loop BB30_13 Depth=1
                                        ; =>  This Inner Loop Header: Depth=2
	flat_load_dword v38, v[30:31]
	flat_load_dword v39, v[30:31] offset:256
	v_lshlrev_b32_e32 v37, 2, v6
	v_lshlrev_b32_e32 v41, 2, v8
	ds_read_b32 v40, v37
	ds_read_b32 v41, v41
	v_lshl_add_u64 v[28:29], v[28:29], 0, -2
	v_cmp_eq_u64_e32 vcc, 0, v[28:29]
	v_lshl_add_u64 v[8:9], v[8:9], 0, s[30:31]
	v_lshl_add_u64 v[6:7], v[6:7], 0, s[30:31]
	s_or_b64 s[42:43], vcc, s[42:43]
	s_waitcnt vmcnt(0) lgkmcnt(0)
	v_pk_fma_f32 v[38:39], v[26:27], v[40:41], v[38:39]
	flat_store_dword v[30:31], v38
	flat_store_dword v[30:31], v39 offset:256
	v_lshl_add_u64 v[30:31], v[30:31], 0, s[34:35]
	s_andn2_b64 exec, exec, s[42:43]
	s_cbranch_execnz .LBB30_29
; %bb.30:                               ;   in Loop: Header=BB30_13 Depth=1
	s_or_b64 exec, exec, s[42:43]
	s_mov_b64 s[42:43], 0
	s_and_saveexec_b64 s[44:45], s[6:7]
; %bb.31:                               ;   in Loop: Header=BB30_13 Depth=1
	s_mov_b64 s[42:43], exec
; %bb.32:                               ;   in Loop: Header=BB30_13 Depth=1
	s_or_b64 exec, exec, s[44:45]
	s_orn2_b64 s[42:43], s[42:43], exec
	v_mov_b64_e32 v[6:7], v[16:17]
	v_mov_b64_e32 v[8:9], v[22:23]
.LBB30_33:                              ;   in Loop: Header=BB30_13 Depth=1
	s_or_b64 exec, exec, s[40:41]
	s_andn2_b64 s[40:41], s[24:25], exec
	s_and_b64 s[42:43], s[42:43], exec
	s_or_b64 s[40:41], s[40:41], s[42:43]
.LBB30_34:                              ;   in Loop: Header=BB30_13 Depth=1
	s_or_b64 exec, exec, s[38:39]
	s_and_b64 exec, exec, s[40:41]
	s_cbranch_execz .LBB30_12
; %bb.35:                               ;   in Loop: Header=BB30_13 Depth=1
	v_lshlrev_b32_e32 v27, 2, v6
	v_lshl_add_u64 v[8:9], s[10:11], 0, v[8:9]
	s_mov_b64 s[38:39], 0
.LBB30_36:                              ;   Parent Loop BB30_13 Depth=1
                                        ; =>  This Inner Loop Header: Depth=2
	flat_load_dword v28, v[8:9]
	ds_read_b32 v29, v27
	v_lshl_add_u64 v[6:7], v[6:7], 0, 64
	v_cmp_le_i64_e32 vcc, s[12:13], v[6:7]
	v_add_u32_e32 v27, 0x100, v27
	s_or_b64 s[38:39], vcc, s[38:39]
	s_waitcnt vmcnt(0) lgkmcnt(0)
	v_fmac_f32_e32 v28, v26, v29
	flat_store_dword v[8:9], v28
	v_lshl_add_u64 v[8:9], v[8:9], 0, s[28:29]
	s_andn2_b64 exec, exec, s[38:39]
	s_cbranch_execnz .LBB30_36
	s_branch .LBB30_12
.LBB30_37:
	s_endpgm
	.section	.rodata,"a",@progbits
	.p2align	6, 0x0
	.amdhsa_kernel _ZN9rocsolver6v33100L22larf_left_kernel_smallILi64EflPKPfEEvT1_S5_T2_lS5_lPKT0_lS6_lS5_l
		.amdhsa_group_segment_fixed_size 8448
		.amdhsa_private_segment_fixed_size 0
		.amdhsa_kernarg_size 96
		.amdhsa_user_sgpr_count 2
		.amdhsa_user_sgpr_dispatch_ptr 0
		.amdhsa_user_sgpr_queue_ptr 0
		.amdhsa_user_sgpr_kernarg_segment_ptr 1
		.amdhsa_user_sgpr_dispatch_id 0
		.amdhsa_user_sgpr_kernarg_preload_length 0
		.amdhsa_user_sgpr_kernarg_preload_offset 0
		.amdhsa_user_sgpr_private_segment_size 0
		.amdhsa_uses_dynamic_stack 0
		.amdhsa_enable_private_segment 0
		.amdhsa_system_sgpr_workgroup_id_x 1
		.amdhsa_system_sgpr_workgroup_id_y 1
		.amdhsa_system_sgpr_workgroup_id_z 0
		.amdhsa_system_sgpr_workgroup_info 0
		.amdhsa_system_vgpr_workitem_id 0
		.amdhsa_next_free_vgpr 81
		.amdhsa_next_free_sgpr 96
		.amdhsa_accum_offset 44
		.amdhsa_reserve_vcc 1
		.amdhsa_float_round_mode_32 0
		.amdhsa_float_round_mode_16_64 0
		.amdhsa_float_denorm_mode_32 3
		.amdhsa_float_denorm_mode_16_64 3
		.amdhsa_dx10_clamp 1
		.amdhsa_ieee_mode 1
		.amdhsa_fp16_overflow 0
		.amdhsa_tg_split 0
		.amdhsa_exception_fp_ieee_invalid_op 0
		.amdhsa_exception_fp_denorm_src 0
		.amdhsa_exception_fp_ieee_div_zero 0
		.amdhsa_exception_fp_ieee_overflow 0
		.amdhsa_exception_fp_ieee_underflow 0
		.amdhsa_exception_fp_ieee_inexact 0
		.amdhsa_exception_int_div_zero 0
	.end_amdhsa_kernel
	.section	.text._ZN9rocsolver6v33100L22larf_left_kernel_smallILi64EflPKPfEEvT1_S5_T2_lS5_lPKT0_lS6_lS5_l,"axG",@progbits,_ZN9rocsolver6v33100L22larf_left_kernel_smallILi64EflPKPfEEvT1_S5_T2_lS5_lPKT0_lS6_lS5_l,comdat
.Lfunc_end30:
	.size	_ZN9rocsolver6v33100L22larf_left_kernel_smallILi64EflPKPfEEvT1_S5_T2_lS5_lPKT0_lS6_lS5_l, .Lfunc_end30-_ZN9rocsolver6v33100L22larf_left_kernel_smallILi64EflPKPfEEvT1_S5_T2_lS5_lPKT0_lS6_lS5_l
                                        ; -- End function
	.set _ZN9rocsolver6v33100L22larf_left_kernel_smallILi64EflPKPfEEvT1_S5_T2_lS5_lPKT0_lS6_lS5_l.num_vgpr, 42
	.set _ZN9rocsolver6v33100L22larf_left_kernel_smallILi64EflPKPfEEvT1_S5_T2_lS5_lPKT0_lS6_lS5_l.num_agpr, 0
	.set _ZN9rocsolver6v33100L22larf_left_kernel_smallILi64EflPKPfEEvT1_S5_T2_lS5_lPKT0_lS6_lS5_l.numbered_sgpr, 46
	.set _ZN9rocsolver6v33100L22larf_left_kernel_smallILi64EflPKPfEEvT1_S5_T2_lS5_lPKT0_lS6_lS5_l.num_named_barrier, 0
	.set _ZN9rocsolver6v33100L22larf_left_kernel_smallILi64EflPKPfEEvT1_S5_T2_lS5_lPKT0_lS6_lS5_l.private_seg_size, 0
	.set _ZN9rocsolver6v33100L22larf_left_kernel_smallILi64EflPKPfEEvT1_S5_T2_lS5_lPKT0_lS6_lS5_l.uses_vcc, 1
	.set _ZN9rocsolver6v33100L22larf_left_kernel_smallILi64EflPKPfEEvT1_S5_T2_lS5_lPKT0_lS6_lS5_l.uses_flat_scratch, 0
	.set _ZN9rocsolver6v33100L22larf_left_kernel_smallILi64EflPKPfEEvT1_S5_T2_lS5_lPKT0_lS6_lS5_l.has_dyn_sized_stack, 0
	.set _ZN9rocsolver6v33100L22larf_left_kernel_smallILi64EflPKPfEEvT1_S5_T2_lS5_lPKT0_lS6_lS5_l.has_recursion, 0
	.set _ZN9rocsolver6v33100L22larf_left_kernel_smallILi64EflPKPfEEvT1_S5_T2_lS5_lPKT0_lS6_lS5_l.has_indirect_call, 0
	.section	.AMDGPU.csdata,"",@progbits
; Kernel info:
; codeLenInByte = 1848
; TotalNumSgprs: 52
; NumVgprs: 42
; NumAgprs: 0
; TotalNumVgprs: 42
; ScratchSize: 0
; MemoryBound: 0
; FloatMode: 240
; IeeeMode: 1
; LDSByteSize: 8448 bytes/workgroup (compile time only)
; SGPRBlocks: 12
; VGPRBlocks: 10
; NumSGPRsForWavesPerEU: 102
; NumVGPRsForWavesPerEU: 81
; AccumOffset: 44
; Occupancy: 5
; WaveLimiterHint : 1
; COMPUTE_PGM_RSRC2:SCRATCH_EN: 0
; COMPUTE_PGM_RSRC2:USER_SGPR: 2
; COMPUTE_PGM_RSRC2:TRAP_HANDLER: 0
; COMPUTE_PGM_RSRC2:TGID_X_EN: 1
; COMPUTE_PGM_RSRC2:TGID_Y_EN: 1
; COMPUTE_PGM_RSRC2:TGID_Z_EN: 0
; COMPUTE_PGM_RSRC2:TIDIG_COMP_CNT: 0
; COMPUTE_PGM_RSRC3_GFX90A:ACCUM_OFFSET: 10
; COMPUTE_PGM_RSRC3_GFX90A:TG_SPLIT: 0
	.section	.text._ZN9rocsolver6v33100L22larf_left_kernel_smallILi128EflPKPfEEvT1_S5_T2_lS5_lPKT0_lS6_lS5_l,"axG",@progbits,_ZN9rocsolver6v33100L22larf_left_kernel_smallILi128EflPKPfEEvT1_S5_T2_lS5_lPKT0_lS6_lS5_l,comdat
	.globl	_ZN9rocsolver6v33100L22larf_left_kernel_smallILi128EflPKPfEEvT1_S5_T2_lS5_lPKT0_lS6_lS5_l ; -- Begin function _ZN9rocsolver6v33100L22larf_left_kernel_smallILi128EflPKPfEEvT1_S5_T2_lS5_lPKT0_lS6_lS5_l
	.p2align	8
	.type	_ZN9rocsolver6v33100L22larf_left_kernel_smallILi128EflPKPfEEvT1_S5_T2_lS5_lPKT0_lS6_lS5_l,@function
_ZN9rocsolver6v33100L22larf_left_kernel_smallILi128EflPKPfEEvT1_S5_T2_lS5_lPKT0_lS6_lS5_l: ; @_ZN9rocsolver6v33100L22larf_left_kernel_smallILi128EflPKPfEEvT1_S5_T2_lS5_lPKT0_lS6_lS5_l
; %bb.0:
	s_load_dwordx8 s[16:23], s[0:1], 0x0
	s_load_dwordx2 s[4:5], s[0:1], 0x20
	s_load_dwordx8 s[8:15], s[0:1], 0x30
	s_mov_b32 s24, s3
	s_mov_b32 s3, 0
	s_lshl_b64 s[6:7], s[2:3], 3
	s_waitcnt lgkmcnt(0)
	s_add_u32 s26, s20, s6
	s_addc_u32 s27, s21, s7
	s_add_u32 s6, s12, s6
	s_addc_u32 s7, s13, s7
	v_cmp_gt_i64_e64 s[12:13], s[4:5], 0
	s_mov_b64 s[20:21], 0
	s_and_b64 vcc, exec, s[12:13]
	s_cbranch_vccnz .LBB31_2
; %bb.1:
	s_sub_u32 s3, 1, s16
	s_subb_u32 s12, 0, s17
	s_mul_i32 s12, s4, s12
	s_mul_hi_u32 s13, s4, s3
	s_add_i32 s12, s13, s12
	s_mul_i32 s13, s5, s3
	s_add_i32 s21, s12, s13
	s_mul_i32 s20, s4, s3
.LBB31_2:
	s_load_dwordx2 s[28:29], s[6:7], 0x0
	v_mov_b32_e32 v1, 0
	v_cmp_gt_i64_e64 s[12:13], s[16:17], v[0:1]
	v_not_b32_e32 v2, v0
	s_and_saveexec_b64 s[6:7], s[12:13]
	s_cbranch_execz .LBB31_10
; %bb.3:
	s_load_dwordx2 s[26:27], s[26:27], 0x0
	v_mov_b32_e32 v3, -1
	v_lshl_add_u64 v[4:5], s[16:17], 0, v[2:3]
	s_mov_b64 s[30:31], 0x7f
	v_cmp_lt_u64_e32 vcc, s[30:31], v[4:5]
	s_mov_b64 s[34:35], -1
	v_mov_b64_e32 v[8:9], v[0:1]
	s_and_saveexec_b64 s[30:31], vcc
	s_cbranch_execz .LBB31_7
; %bb.4:
	s_lshl_b64 s[34:35], s[22:23], 2
	s_waitcnt lgkmcnt(0)
	s_add_u32 s3, s26, s34
	v_lshrrev_b64 v[4:5], 7, v[4:5]
	s_addc_u32 s25, s27, s35
	s_lshl_b64 s[34:35], s[20:21], 2
	v_lshl_add_u64 v[4:5], v[4:5], 0, 1
	s_add_u32 s34, s3, s34
	v_and_b32_e32 v6, -2, v4
	v_mov_b32_e32 v7, v5
	v_mov_b32_e32 v11, 0
	s_addc_u32 s35, s25, s35
	s_mov_b32 s3, s4
	s_mov_b32 s25, s5
	v_or_b32_e32 v8, 0x80, v0
	v_mov_b32_e32 v10, v0
	v_mov_b32_e32 v9, v11
	s_mov_b64 s[36:37], 0
	s_mov_b64 s[38:39], 0x100
	v_mov_b64_e32 v[12:13], v[6:7]
.LBB31_5:                               ; =>This Inner Loop Header: Depth=1
	v_mul_lo_u32 v19, v11, s4
	v_mul_lo_u32 v20, v10, s5
	v_mad_u64_u32 v[16:17], s[40:41], v10, s4, 0
	v_mul_lo_u32 v3, v9, s3
	v_mul_lo_u32 v18, v8, s25
	v_mad_u64_u32 v[14:15], s[40:41], v8, s3, 0
	v_add3_u32 v17, v17, v20, v19
	v_add3_u32 v15, v15, v18, v3
	v_lshl_add_u64 v[16:17], v[16:17], 2, s[34:35]
	v_lshl_add_u64 v[14:15], v[14:15], 2, s[34:35]
	flat_load_dword v3, v[16:17]
	flat_load_dword v18, v[14:15]
	v_lshl_add_u64 v[12:13], v[12:13], 0, -2
	v_cmp_eq_u64_e32 vcc, 0, v[12:13]
	v_lshlrev_b32_e32 v14, 2, v10
	v_lshlrev_b32_e32 v15, 2, v8
	v_lshl_add_u64 v[8:9], v[8:9], 0, s[38:39]
	v_lshl_add_u64 v[10:11], v[10:11], 0, s[38:39]
	s_or_b64 s[36:37], vcc, s[36:37]
	s_waitcnt vmcnt(0) lgkmcnt(0)
	ds_write_b32 v14, v3
	ds_write_b32 v15, v18
	s_andn2_b64 exec, exec, s[36:37]
	s_cbranch_execnz .LBB31_5
; %bb.6:
	s_or_b64 exec, exec, s[36:37]
	v_lshlrev_b64 v[8:9], 7, v[6:7]
	v_cmp_ne_u64_e32 vcc, v[4:5], v[6:7]
	v_or_b32_e32 v8, v8, v0
	s_orn2_b64 s[34:35], vcc, exec
.LBB31_7:
	s_or_b64 exec, exec, s[30:31]
	s_and_b64 exec, exec, s[34:35]
	s_cbranch_execz .LBB31_10
; %bb.8:
	s_lshl_b64 s[20:21], s[20:21], 2
	s_lshl_b64 s[22:23], s[22:23], 2
	s_waitcnt lgkmcnt(0)
	s_add_u32 s3, s26, s22
	s_addc_u32 s22, s27, s23
	v_mul_lo_u32 v3, v9, s4
	v_mul_lo_u32 v6, v8, s5
	v_mad_u64_u32 v[4:5], s[30:31], v8, s4, 0
	s_add_u32 s20, s3, s20
	v_add3_u32 v5, v5, v6, v3
	s_addc_u32 s21, s22, s21
	v_lshl_add_u64 v[4:5], v[4:5], 2, s[20:21]
	s_lshl_b64 s[4:5], s[4:5], 9
	v_lshlrev_b32_e32 v3, 2, v8
	s_mov_b64 s[20:21], 0
	s_mov_b64 s[22:23], 0x80
.LBB31_9:                               ; =>This Inner Loop Header: Depth=1
	flat_load_dword v6, v[4:5]
	v_lshl_add_u64 v[8:9], v[8:9], 0, s[22:23]
	v_cmp_le_i64_e32 vcc, s[16:17], v[8:9]
	v_lshl_add_u64 v[4:5], v[4:5], 0, s[4:5]
	s_or_b64 s[20:21], vcc, s[20:21]
	s_waitcnt vmcnt(0) lgkmcnt(0)
	ds_write_b32 v3, v6
	v_add_u32_e32 v3, 0x200, v3
	s_andn2_b64 exec, exec, s[20:21]
	s_cbranch_execnz .LBB31_9
.LBB31_10:
	s_or_b64 exec, exec, s[6:7]
	s_mov_b32 s25, 0
	v_mov_b64_e32 v[4:5], s[24:25]
	v_cmp_le_i64_e32 vcc, s[18:19], v[4:5]
	s_waitcnt lgkmcnt(0)
	s_barrier
	s_cbranch_vccnz .LBB31_39
; %bb.11:
	s_load_dwordx2 s[22:23], s[0:1], 0x50
	s_mul_i32 s0, s11, s2
	s_mul_hi_u32 s1, s10, s2
	s_add_i32 s1, s1, s0
	s_mul_i32 s0, s10, s2
	s_lshl_b64 s[0:1], s[0:1], 2
	s_add_u32 s0, s8, s0
	s_addc_u32 s1, s9, s1
	s_cmp_gt_i32 s16, 1
	v_and_b32_e32 v3, 63, v0
	s_waitcnt lgkmcnt(0)
	s_mul_i32 s8, s23, s24
	s_mul_hi_u32 s9, s22, s24
	s_cselect_b64 s[20:21], -1, 0
	v_cmp_eq_u32_e64 s[4:5], 0, v3
	v_mov_b32_e32 v3, -1
	s_add_i32 s31, s9, s8
	s_mul_i32 s30, s22, s24
	v_lshl_add_u64 v[2:3], s[16:17], 0, v[2:3]
	s_add_u32 s8, s30, s14
	s_addc_u32 s9, s31, s15
	s_lshl_b64 s[22:23], s[22:23], 8
	v_lshrrev_b64 v[6:7], 7, v[2:3]
	s_lshl_b64 s[30:31], s[30:31], 2
	s_lshl_b64 s[14:15], s[14:15], 2
	v_lshl_add_u64 v[4:5], s[8:9], 0, v[0:1]
	v_lshl_add_u64 v[6:7], v[6:7], 0, 1
	s_mov_b64 s[8:9], 0x180
	s_mov_b32 s10, -1
	s_add_u32 s14, s30, s14
	v_cmp_gt_u64_e64 s[26:27], s[8:9], v[2:3]
	s_mov_b64 s[8:9], 0x17f
	s_brev_b32 s11, -4
	v_and_b32_e32 v14, -2, v6
	v_mov_b32_e32 v15, v7
	s_addc_u32 s15, s31, s15
	v_cmp_lt_u64_e64 s[8:9], s[8:9], v[2:3]
	v_lshlrev_b64 v[12:13], 2, v[2:3]
	v_cmp_lt_u64_e32 vcc, s[10:11], v[2:3]
	v_lshlrev_b64 v[16:17], 7, v[14:15]
	v_mov_b32_e32 v3, 0
	v_cmp_ne_u64_e64 s[10:11], v[6:7], v[14:15]
	s_add_u32 s14, s28, s14
	v_mbcnt_lo_u32_b32 v6, -1, 0
	v_or_b32_e32 v16, v16, v0
	v_lshlrev_b32_e32 v18, 2, v0
	v_mov_b32_e32 v19, v3
	s_addc_u32 s15, s29, s15
	v_mbcnt_hi_u32_b32 v34, -1, v6
	v_mov_b32_e32 v6, 0x80
	v_cmp_gt_i32_e64 s[2:3], s16, v0
	v_lshrrev_b32_e32 v32, 4, v0
	v_cmp_eq_u32_e64 s[6:7], 0, v0
	v_lshl_add_u64 v[10:11], v[4:5], 2, s[28:29]
	v_and_b32_e32 v12, 0xfffffe00, v12
	v_or_b32_e32 v4, 0x80, v0
	v_mov_b32_e32 v2, v0
	v_mov_b32_e32 v5, v3
	v_lshlrev_b32_e32 v33, 2, v0
	v_lshl_add_u64 v[20:21], s[14:15], 0, v[18:19]
	s_mov_b64 s[28:29], 0
	s_mov_b64 s[30:31], 0x200
	;; [unrolled: 1-line block ×4, first 2 shown]
	v_lshlrev_b64 v[22:23], 2, v[16:17]
	s_mov_b64 s[38:39], 0x80
	v_mov_b64_e32 v[24:25], s[18:19]
	v_and_b32_e32 v35, 63, v34
	v_lshl_or_b32 v36, v34, 2, v6
	s_xor_b64 s[18:19], vcc, -1
	s_branch .LBB31_13
.LBB31_12:                              ;   in Loop: Header=BB31_13 Depth=1
	s_or_b64 exec, exec, s[40:41]
	s_add_u32 s24, s24, 64
	s_addc_u32 s25, s25, 0
	s_add_u32 s28, s28, 1
	s_addc_u32 s29, s29, 0
	s_add_u32 s14, s14, s22
	v_cmp_ge_i64_e32 vcc, s[24:25], v[24:25]
	v_lshl_add_u64 v[20:21], v[20:21], 0, s[22:23]
	s_addc_u32 s15, s15, s23
	s_cbranch_vccnz .LBB31_39
.LBB31_13:                              ; =>This Loop Header: Depth=1
                                        ;     Child Loop BB31_15 Depth 2
                                        ;     Child Loop BB31_31 Depth 2
	;; [unrolled: 1-line block ×3, first 2 shown]
	v_mov_b32_e32 v8, 0
	s_and_saveexec_b64 s[40:41], s[2:3]
	s_cbranch_execz .LBB31_17
; %bb.14:                               ;   in Loop: Header=BB31_13 Depth=1
	v_mov_b32_e32 v8, 0
	s_mov_b64 s[42:43], 0
	v_mov_b64_e32 v[6:7], v[20:21]
	v_mov_b32_e32 v9, v33
	v_mov_b32_e32 v26, v0
.LBB31_15:                              ;   Parent Loop BB31_13 Depth=1
                                        ; =>  This Inner Loop Header: Depth=2
	flat_load_dword v27, v[6:7]
	ds_read_b32 v28, v9
	v_add_u32_e32 v26, 0x80, v26
	v_cmp_le_i32_e32 vcc, s16, v26
	v_add_u32_e32 v9, 0x200, v9
	v_lshl_add_u64 v[6:7], v[6:7], 0, s[30:31]
	s_or_b64 s[42:43], vcc, s[42:43]
	s_waitcnt vmcnt(0) lgkmcnt(0)
	v_fmac_f32_e32 v8, v28, v27
	s_andn2_b64 exec, exec, s[42:43]
	s_cbranch_execnz .LBB31_15
; %bb.16:                               ;   in Loop: Header=BB31_13 Depth=1
	s_or_b64 exec, exec, s[42:43]
.LBB31_17:                              ;   in Loop: Header=BB31_13 Depth=1
	s_or_b64 exec, exec, s[40:41]
	s_and_b64 vcc, exec, s[20:21]
	s_cbranch_vccz .LBB31_24
; %bb.18:                               ;   in Loop: Header=BB31_13 Depth=1
	v_cmp_ne_u32_e32 vcc, 63, v35
	s_nop 1
	v_addc_co_u32_e32 v6, vcc, 0, v34, vcc
	v_lshlrev_b32_e32 v6, 2, v6
	ds_bpermute_b32 v6, v6, v8
	v_cmp_gt_u32_e32 vcc, 62, v35
	s_waitcnt lgkmcnt(0)
	v_add_f32_e32 v6, v8, v6
	v_cndmask_b32_e64 v7, 0, 2, vcc
	v_add_lshl_u32 v7, v7, v34, 2
	ds_bpermute_b32 v7, v7, v6
	v_cmp_gt_u32_e32 vcc, 60, v35
	s_waitcnt lgkmcnt(0)
	v_add_f32_e32 v6, v6, v7
	v_cndmask_b32_e64 v9, 0, 4, vcc
	v_add_lshl_u32 v9, v9, v34, 2
	;; [unrolled: 6-line block ×4, first 2 shown]
	ds_bpermute_b32 v7, v7, v6
	s_waitcnt lgkmcnt(0)
	v_add_f32_e32 v6, v6, v7
	ds_bpermute_b32 v7, v36, v6
	s_waitcnt lgkmcnt(0)
	v_add_f32_e32 v7, v6, v7
	s_and_saveexec_b64 s[40:41], s[4:5]
; %bb.19:                               ;   in Loop: Header=BB31_13 Depth=1
	ds_write_b32 v32, v7 offset:8192
; %bb.20:                               ;   in Loop: Header=BB31_13 Depth=1
	s_or_b64 exec, exec, s[40:41]
	s_mov_b64 s[42:43], 0
	s_mov_b64 s[40:41], 0
	s_waitcnt lgkmcnt(0)
	s_barrier
                                        ; implicit-def: $vgpr6
	s_and_saveexec_b64 s[44:45], s[6:7]
	s_xor_b64 s[44:45], exec, s[44:45]
	s_cbranch_execz .LBB31_22
; %bb.21:                               ;   in Loop: Header=BB31_13 Depth=1
	ds_read_b32 v6, v3 offset:8196
	s_mov_b64 s[40:41], exec
	s_waitcnt lgkmcnt(0)
	v_add_f32_e32 v6, v7, v6
.LBB31_22:                              ;   in Loop: Header=BB31_13 Depth=1
	s_or_b64 exec, exec, s[44:45]
	s_and_b64 vcc, exec, s[42:43]
	s_cbranch_vccnz .LBB31_25
.LBB31_23:                              ;   in Loop: Header=BB31_13 Depth=1
	v_mov_b32_e32 v8, v6
	s_and_saveexec_b64 s[42:43], s[40:41]
	s_cbranch_execnz .LBB31_26
	s_branch .LBB31_27
.LBB31_24:                              ;   in Loop: Header=BB31_13 Depth=1
	s_mov_b64 s[40:41], 0
                                        ; implicit-def: $vgpr6
	s_cbranch_execz .LBB31_23
.LBB31_25:                              ;   in Loop: Header=BB31_13 Depth=1
	s_andn2_b64 s[40:41], s[40:41], exec
	s_and_b64 s[42:43], s[6:7], exec
	s_or_b64 s[40:41], s[40:41], s[42:43]
	s_and_saveexec_b64 s[42:43], s[40:41]
.LBB31_26:                              ;   in Loop: Header=BB31_13 Depth=1
	ds_write_b32 v3, v8 offset:8192
.LBB31_27:                              ;   in Loop: Header=BB31_13 Depth=1
	s_or_b64 exec, exec, s[42:43]
	s_waitcnt lgkmcnt(0)
	s_barrier
	s_and_saveexec_b64 s[40:41], s[12:13]
	s_cbranch_execz .LBB31_12
; %bb.28:                               ;   in Loop: Header=BB31_13 Depth=1
	global_load_dword v8, v3, s[0:1]
	ds_read_b32 v9, v3 offset:8192
	s_mov_b64 s[44:45], s[26:27]
	v_mov_b64_e32 v[6:7], v[0:1]
	s_waitcnt vmcnt(0) lgkmcnt(0)
	v_mul_f32_e64 v26, v9, -v8
	v_mov_b64_e32 v[8:9], v[18:19]
	s_and_saveexec_b64 s[42:43], s[8:9]
	s_cbranch_execz .LBB31_36
; %bb.29:                               ;   in Loop: Header=BB31_13 Depth=1
	s_mul_i32 s33, s23, s28
	s_mul_i32 s44, s22, s29
	v_mov_b32_e32 v6, s28
	s_add_i32 s33, s44, s33
	v_mad_u64_u32 v[6:7], s[44:45], s22, v6, v[10:11]
	v_add_u32_e32 v7, s33, v7
	v_lshl_add_u64 v[8:9], v[6:7], 0, v[12:13]
	v_cmp_ge_u64_e32 vcc, v[8:9], v[6:7]
	s_mov_b64 s[46:47], -1
	s_and_b64 s[48:49], vcc, s[18:19]
	v_mov_b64_e32 v[6:7], v[0:1]
	v_mov_b64_e32 v[8:9], v[18:19]
	s_and_saveexec_b64 s[44:45], s[48:49]
	s_cbranch_execz .LBB31_35
; %bb.30:                               ;   in Loop: Header=BB31_13 Depth=1
	v_mov_b64_e32 v[8:9], v[4:5]
	v_mov_b32_e32 v27, v26
	s_mov_b64 s[46:47], 0
	v_mov_b64_e32 v[28:29], v[14:15]
	v_mov_b64_e32 v[30:31], v[20:21]
	;; [unrolled: 1-line block ×3, first 2 shown]
.LBB31_31:                              ;   Parent Loop BB31_13 Depth=1
                                        ; =>  This Inner Loop Header: Depth=2
	flat_load_dword v38, v[30:31]
	flat_load_dword v39, v[30:31] offset:512
	v_lshlrev_b32_e32 v37, 2, v6
	v_lshlrev_b32_e32 v41, 2, v8
	ds_read_b32 v40, v37
	ds_read_b32 v41, v41
	v_lshl_add_u64 v[28:29], v[28:29], 0, -2
	v_cmp_eq_u64_e32 vcc, 0, v[28:29]
	v_lshl_add_u64 v[8:9], v[8:9], 0, s[34:35]
	v_lshl_add_u64 v[6:7], v[6:7], 0, s[34:35]
	s_or_b64 s[46:47], vcc, s[46:47]
	s_waitcnt vmcnt(0) lgkmcnt(0)
	v_pk_fma_f32 v[38:39], v[26:27], v[40:41], v[38:39]
	flat_store_dword v[30:31], v38
	flat_store_dword v[30:31], v39 offset:512
	v_lshl_add_u64 v[30:31], v[30:31], 0, s[36:37]
	s_andn2_b64 exec, exec, s[46:47]
	s_cbranch_execnz .LBB31_31
; %bb.32:                               ;   in Loop: Header=BB31_13 Depth=1
	s_or_b64 exec, exec, s[46:47]
	s_mov_b64 s[46:47], 0
	s_and_saveexec_b64 s[48:49], s[10:11]
; %bb.33:                               ;   in Loop: Header=BB31_13 Depth=1
	s_mov_b64 s[46:47], exec
; %bb.34:                               ;   in Loop: Header=BB31_13 Depth=1
	s_or_b64 exec, exec, s[48:49]
	s_orn2_b64 s[46:47], s[46:47], exec
	v_mov_b64_e32 v[6:7], v[16:17]
	v_mov_b64_e32 v[8:9], v[22:23]
.LBB31_35:                              ;   in Loop: Header=BB31_13 Depth=1
	s_or_b64 exec, exec, s[44:45]
	s_andn2_b64 s[44:45], s[26:27], exec
	s_and_b64 s[46:47], s[46:47], exec
	s_or_b64 s[44:45], s[44:45], s[46:47]
.LBB31_36:                              ;   in Loop: Header=BB31_13 Depth=1
	s_or_b64 exec, exec, s[42:43]
	s_and_b64 exec, exec, s[44:45]
	s_cbranch_execz .LBB31_12
; %bb.37:                               ;   in Loop: Header=BB31_13 Depth=1
	v_lshlrev_b32_e32 v27, 2, v6
	v_lshl_add_u64 v[8:9], s[14:15], 0, v[8:9]
	s_mov_b64 s[42:43], 0
.LBB31_38:                              ;   Parent Loop BB31_13 Depth=1
                                        ; =>  This Inner Loop Header: Depth=2
	flat_load_dword v28, v[8:9]
	ds_read_b32 v29, v27
	v_lshl_add_u64 v[6:7], v[6:7], 0, s[38:39]
	v_cmp_le_i64_e32 vcc, s[16:17], v[6:7]
	v_add_u32_e32 v27, 0x200, v27
	s_or_b64 s[42:43], vcc, s[42:43]
	s_waitcnt vmcnt(0) lgkmcnt(0)
	v_fmac_f32_e32 v28, v26, v29
	flat_store_dword v[8:9], v28
	v_lshl_add_u64 v[8:9], v[8:9], 0, s[30:31]
	s_andn2_b64 exec, exec, s[42:43]
	s_cbranch_execnz .LBB31_38
	s_branch .LBB31_12
.LBB31_39:
	s_endpgm
	.section	.rodata,"a",@progbits
	.p2align	6, 0x0
	.amdhsa_kernel _ZN9rocsolver6v33100L22larf_left_kernel_smallILi128EflPKPfEEvT1_S5_T2_lS5_lPKT0_lS6_lS5_l
		.amdhsa_group_segment_fixed_size 8704
		.amdhsa_private_segment_fixed_size 0
		.amdhsa_kernarg_size 96
		.amdhsa_user_sgpr_count 2
		.amdhsa_user_sgpr_dispatch_ptr 0
		.amdhsa_user_sgpr_queue_ptr 0
		.amdhsa_user_sgpr_kernarg_segment_ptr 1
		.amdhsa_user_sgpr_dispatch_id 0
		.amdhsa_user_sgpr_kernarg_preload_length 0
		.amdhsa_user_sgpr_kernarg_preload_offset 0
		.amdhsa_user_sgpr_private_segment_size 0
		.amdhsa_uses_dynamic_stack 0
		.amdhsa_enable_private_segment 0
		.amdhsa_system_sgpr_workgroup_id_x 1
		.amdhsa_system_sgpr_workgroup_id_y 1
		.amdhsa_system_sgpr_workgroup_id_z 0
		.amdhsa_system_sgpr_workgroup_info 0
		.amdhsa_system_vgpr_workitem_id 0
		.amdhsa_next_free_vgpr 42
		.amdhsa_next_free_sgpr 50
		.amdhsa_accum_offset 44
		.amdhsa_reserve_vcc 1
		.amdhsa_float_round_mode_32 0
		.amdhsa_float_round_mode_16_64 0
		.amdhsa_float_denorm_mode_32 3
		.amdhsa_float_denorm_mode_16_64 3
		.amdhsa_dx10_clamp 1
		.amdhsa_ieee_mode 1
		.amdhsa_fp16_overflow 0
		.amdhsa_tg_split 0
		.amdhsa_exception_fp_ieee_invalid_op 0
		.amdhsa_exception_fp_denorm_src 0
		.amdhsa_exception_fp_ieee_div_zero 0
		.amdhsa_exception_fp_ieee_overflow 0
		.amdhsa_exception_fp_ieee_underflow 0
		.amdhsa_exception_fp_ieee_inexact 0
		.amdhsa_exception_int_div_zero 0
	.end_amdhsa_kernel
	.section	.text._ZN9rocsolver6v33100L22larf_left_kernel_smallILi128EflPKPfEEvT1_S5_T2_lS5_lPKT0_lS6_lS5_l,"axG",@progbits,_ZN9rocsolver6v33100L22larf_left_kernel_smallILi128EflPKPfEEvT1_S5_T2_lS5_lPKT0_lS6_lS5_l,comdat
.Lfunc_end31:
	.size	_ZN9rocsolver6v33100L22larf_left_kernel_smallILi128EflPKPfEEvT1_S5_T2_lS5_lPKT0_lS6_lS5_l, .Lfunc_end31-_ZN9rocsolver6v33100L22larf_left_kernel_smallILi128EflPKPfEEvT1_S5_T2_lS5_lPKT0_lS6_lS5_l
                                        ; -- End function
	.set _ZN9rocsolver6v33100L22larf_left_kernel_smallILi128EflPKPfEEvT1_S5_T2_lS5_lPKT0_lS6_lS5_l.num_vgpr, 42
	.set _ZN9rocsolver6v33100L22larf_left_kernel_smallILi128EflPKPfEEvT1_S5_T2_lS5_lPKT0_lS6_lS5_l.num_agpr, 0
	.set _ZN9rocsolver6v33100L22larf_left_kernel_smallILi128EflPKPfEEvT1_S5_T2_lS5_lPKT0_lS6_lS5_l.numbered_sgpr, 50
	.set _ZN9rocsolver6v33100L22larf_left_kernel_smallILi128EflPKPfEEvT1_S5_T2_lS5_lPKT0_lS6_lS5_l.num_named_barrier, 0
	.set _ZN9rocsolver6v33100L22larf_left_kernel_smallILi128EflPKPfEEvT1_S5_T2_lS5_lPKT0_lS6_lS5_l.private_seg_size, 0
	.set _ZN9rocsolver6v33100L22larf_left_kernel_smallILi128EflPKPfEEvT1_S5_T2_lS5_lPKT0_lS6_lS5_l.uses_vcc, 1
	.set _ZN9rocsolver6v33100L22larf_left_kernel_smallILi128EflPKPfEEvT1_S5_T2_lS5_lPKT0_lS6_lS5_l.uses_flat_scratch, 0
	.set _ZN9rocsolver6v33100L22larf_left_kernel_smallILi128EflPKPfEEvT1_S5_T2_lS5_lPKT0_lS6_lS5_l.has_dyn_sized_stack, 0
	.set _ZN9rocsolver6v33100L22larf_left_kernel_smallILi128EflPKPfEEvT1_S5_T2_lS5_lPKT0_lS6_lS5_l.has_recursion, 0
	.set _ZN9rocsolver6v33100L22larf_left_kernel_smallILi128EflPKPfEEvT1_S5_T2_lS5_lPKT0_lS6_lS5_l.has_indirect_call, 0
	.section	.AMDGPU.csdata,"",@progbits
; Kernel info:
; codeLenInByte = 1956
; TotalNumSgprs: 56
; NumVgprs: 42
; NumAgprs: 0
; TotalNumVgprs: 42
; ScratchSize: 0
; MemoryBound: 0
; FloatMode: 240
; IeeeMode: 1
; LDSByteSize: 8704 bytes/workgroup (compile time only)
; SGPRBlocks: 6
; VGPRBlocks: 5
; NumSGPRsForWavesPerEU: 56
; NumVGPRsForWavesPerEU: 42
; AccumOffset: 44
; Occupancy: 8
; WaveLimiterHint : 1
; COMPUTE_PGM_RSRC2:SCRATCH_EN: 0
; COMPUTE_PGM_RSRC2:USER_SGPR: 2
; COMPUTE_PGM_RSRC2:TRAP_HANDLER: 0
; COMPUTE_PGM_RSRC2:TGID_X_EN: 1
; COMPUTE_PGM_RSRC2:TGID_Y_EN: 1
; COMPUTE_PGM_RSRC2:TGID_Z_EN: 0
; COMPUTE_PGM_RSRC2:TIDIG_COMP_CNT: 0
; COMPUTE_PGM_RSRC3_GFX90A:ACCUM_OFFSET: 10
; COMPUTE_PGM_RSRC3_GFX90A:TG_SPLIT: 0
	.section	.text._ZN9rocsolver6v33100L22larf_left_kernel_smallILi256EflPKPfEEvT1_S5_T2_lS5_lPKT0_lS6_lS5_l,"axG",@progbits,_ZN9rocsolver6v33100L22larf_left_kernel_smallILi256EflPKPfEEvT1_S5_T2_lS5_lPKT0_lS6_lS5_l,comdat
	.globl	_ZN9rocsolver6v33100L22larf_left_kernel_smallILi256EflPKPfEEvT1_S5_T2_lS5_lPKT0_lS6_lS5_l ; -- Begin function _ZN9rocsolver6v33100L22larf_left_kernel_smallILi256EflPKPfEEvT1_S5_T2_lS5_lPKT0_lS6_lS5_l
	.p2align	8
	.type	_ZN9rocsolver6v33100L22larf_left_kernel_smallILi256EflPKPfEEvT1_S5_T2_lS5_lPKT0_lS6_lS5_l,@function
_ZN9rocsolver6v33100L22larf_left_kernel_smallILi256EflPKPfEEvT1_S5_T2_lS5_lPKT0_lS6_lS5_l: ; @_ZN9rocsolver6v33100L22larf_left_kernel_smallILi256EflPKPfEEvT1_S5_T2_lS5_lPKT0_lS6_lS5_l
; %bb.0:
	s_load_dwordx8 s[16:23], s[0:1], 0x0
	s_load_dwordx2 s[4:5], s[0:1], 0x20
	s_load_dwordx8 s[8:15], s[0:1], 0x30
	s_mov_b32 s24, s3
	s_mov_b32 s3, 0
	s_lshl_b64 s[6:7], s[2:3], 3
	s_waitcnt lgkmcnt(0)
	s_add_u32 s26, s20, s6
	s_addc_u32 s27, s21, s7
	s_add_u32 s6, s12, s6
	s_addc_u32 s7, s13, s7
	v_cmp_gt_i64_e64 s[12:13], s[4:5], 0
	s_mov_b64 s[20:21], 0
	s_and_b64 vcc, exec, s[12:13]
	s_cbranch_vccnz .LBB32_2
; %bb.1:
	s_sub_u32 s3, 1, s16
	s_subb_u32 s12, 0, s17
	s_mul_i32 s12, s4, s12
	s_mul_hi_u32 s13, s4, s3
	s_add_i32 s12, s13, s12
	s_mul_i32 s13, s5, s3
	s_add_i32 s21, s12, s13
	s_mul_i32 s20, s4, s3
.LBB32_2:
	s_load_dwordx2 s[28:29], s[6:7], 0x0
	v_mov_b32_e32 v1, 0
	v_cmp_gt_i64_e64 s[12:13], s[16:17], v[0:1]
	v_not_b32_e32 v2, v0
	s_and_saveexec_b64 s[6:7], s[12:13]
	s_cbranch_execz .LBB32_10
; %bb.3:
	s_load_dwordx2 s[26:27], s[26:27], 0x0
	v_mov_b32_e32 v3, -1
	v_lshl_add_u64 v[4:5], s[16:17], 0, v[2:3]
	s_mov_b64 s[30:31], 0xff
	v_cmp_lt_u64_e32 vcc, s[30:31], v[4:5]
	s_mov_b64 s[34:35], -1
	v_mov_b64_e32 v[8:9], v[0:1]
	s_and_saveexec_b64 s[30:31], vcc
	s_cbranch_execz .LBB32_7
; %bb.4:
	s_lshl_b64 s[34:35], s[22:23], 2
	s_waitcnt lgkmcnt(0)
	s_add_u32 s3, s26, s34
	v_lshrrev_b64 v[4:5], 8, v[4:5]
	s_addc_u32 s25, s27, s35
	s_lshl_b64 s[34:35], s[20:21], 2
	v_lshl_add_u64 v[4:5], v[4:5], 0, 1
	s_add_u32 s34, s3, s34
	v_and_b32_e32 v6, -2, v4
	v_mov_b32_e32 v7, v5
	v_mov_b32_e32 v11, 0
	s_addc_u32 s35, s25, s35
	s_mov_b32 s3, s4
	s_mov_b32 s25, s5
	v_or_b32_e32 v8, 0x100, v0
	v_mov_b32_e32 v10, v0
	v_mov_b32_e32 v9, v11
	s_mov_b64 s[36:37], 0
	s_mov_b64 s[38:39], 0x200
	v_mov_b64_e32 v[12:13], v[6:7]
.LBB32_5:                               ; =>This Inner Loop Header: Depth=1
	v_mul_lo_u32 v19, v11, s4
	v_mul_lo_u32 v20, v10, s5
	v_mad_u64_u32 v[16:17], s[40:41], v10, s4, 0
	v_mul_lo_u32 v3, v9, s3
	v_mul_lo_u32 v18, v8, s25
	v_mad_u64_u32 v[14:15], s[40:41], v8, s3, 0
	v_add3_u32 v17, v17, v20, v19
	v_add3_u32 v15, v15, v18, v3
	v_lshl_add_u64 v[16:17], v[16:17], 2, s[34:35]
	v_lshl_add_u64 v[14:15], v[14:15], 2, s[34:35]
	flat_load_dword v3, v[16:17]
	flat_load_dword v18, v[14:15]
	v_lshl_add_u64 v[12:13], v[12:13], 0, -2
	v_cmp_eq_u64_e32 vcc, 0, v[12:13]
	v_lshlrev_b32_e32 v14, 2, v10
	v_lshlrev_b32_e32 v15, 2, v8
	v_lshl_add_u64 v[8:9], v[8:9], 0, s[38:39]
	v_lshl_add_u64 v[10:11], v[10:11], 0, s[38:39]
	s_or_b64 s[36:37], vcc, s[36:37]
	s_waitcnt vmcnt(0) lgkmcnt(0)
	ds_write_b32 v14, v3
	ds_write_b32 v15, v18
	s_andn2_b64 exec, exec, s[36:37]
	s_cbranch_execnz .LBB32_5
; %bb.6:
	s_or_b64 exec, exec, s[36:37]
	v_lshlrev_b64 v[8:9], 8, v[6:7]
	v_cmp_ne_u64_e32 vcc, v[4:5], v[6:7]
	v_or_b32_e32 v8, v8, v0
	s_orn2_b64 s[34:35], vcc, exec
.LBB32_7:
	s_or_b64 exec, exec, s[30:31]
	s_and_b64 exec, exec, s[34:35]
	s_cbranch_execz .LBB32_10
; %bb.8:
	s_lshl_b64 s[20:21], s[20:21], 2
	s_lshl_b64 s[22:23], s[22:23], 2
	s_waitcnt lgkmcnt(0)
	s_add_u32 s3, s26, s22
	s_addc_u32 s22, s27, s23
	v_mul_lo_u32 v3, v9, s4
	v_mul_lo_u32 v6, v8, s5
	v_mad_u64_u32 v[4:5], s[30:31], v8, s4, 0
	s_add_u32 s20, s3, s20
	v_add3_u32 v5, v5, v6, v3
	s_addc_u32 s21, s22, s21
	v_lshl_add_u64 v[4:5], v[4:5], 2, s[20:21]
	s_lshl_b64 s[4:5], s[4:5], 10
	v_lshlrev_b32_e32 v3, 2, v8
	s_mov_b64 s[20:21], 0
	s_mov_b64 s[22:23], 0x100
.LBB32_9:                               ; =>This Inner Loop Header: Depth=1
	flat_load_dword v6, v[4:5]
	v_lshl_add_u64 v[8:9], v[8:9], 0, s[22:23]
	v_cmp_le_i64_e32 vcc, s[16:17], v[8:9]
	v_lshl_add_u64 v[4:5], v[4:5], 0, s[4:5]
	s_or_b64 s[20:21], vcc, s[20:21]
	s_waitcnt vmcnt(0) lgkmcnt(0)
	ds_write_b32 v3, v6
	v_add_u32_e32 v3, 0x400, v3
	s_andn2_b64 exec, exec, s[20:21]
	s_cbranch_execnz .LBB32_9
.LBB32_10:
	s_or_b64 exec, exec, s[6:7]
	s_mov_b32 s25, 0
	v_mov_b64_e32 v[4:5], s[24:25]
	v_cmp_le_i64_e32 vcc, s[18:19], v[4:5]
	s_waitcnt lgkmcnt(0)
	s_barrier
	s_cbranch_vccnz .LBB32_39
; %bb.11:
	s_load_dwordx2 s[22:23], s[0:1], 0x50
	s_mul_i32 s0, s11, s2
	s_mul_hi_u32 s1, s10, s2
	s_add_i32 s1, s1, s0
	s_mul_i32 s0, s10, s2
	s_lshl_b64 s[0:1], s[0:1], 2
	s_add_u32 s0, s8, s0
	s_addc_u32 s1, s9, s1
	s_cmp_gt_i32 s16, 1
	v_and_b32_e32 v3, 63, v0
	s_waitcnt lgkmcnt(0)
	s_mul_i32 s8, s23, s24
	s_mul_hi_u32 s9, s22, s24
	s_cselect_b64 s[20:21], -1, 0
	v_cmp_eq_u32_e64 s[4:5], 0, v3
	v_mov_b32_e32 v3, -1
	s_add_i32 s31, s9, s8
	s_mul_i32 s30, s22, s24
	v_lshl_add_u64 v[2:3], s[16:17], 0, v[2:3]
	s_add_u32 s8, s30, s14
	s_addc_u32 s9, s31, s15
	s_lshl_b64 s[22:23], s[22:23], 8
	v_lshrrev_b64 v[6:7], 8, v[2:3]
	s_lshl_b64 s[30:31], s[30:31], 2
	s_lshl_b64 s[14:15], s[14:15], 2
	v_lshl_add_u64 v[4:5], s[8:9], 0, v[0:1]
	v_lshl_add_u64 v[6:7], v[6:7], 0, 1
	s_mov_b64 s[8:9], 0x300
	s_mov_b32 s10, -1
	s_add_u32 s14, s30, s14
	v_cmp_gt_u64_e64 s[26:27], s[8:9], v[2:3]
	s_mov_b64 s[8:9], 0x2ff
	s_brev_b32 s11, -4
	v_and_b32_e32 v14, -2, v6
	v_mov_b32_e32 v15, v7
	s_addc_u32 s15, s31, s15
	v_cmp_lt_u64_e64 s[8:9], s[8:9], v[2:3]
	v_lshlrev_b64 v[12:13], 2, v[2:3]
	v_cmp_lt_u64_e32 vcc, s[10:11], v[2:3]
	v_lshlrev_b64 v[16:17], 8, v[14:15]
	v_mov_b32_e32 v3, 0
	v_cmp_ne_u64_e64 s[10:11], v[6:7], v[14:15]
	s_add_u32 s14, s28, s14
	v_mbcnt_lo_u32_b32 v6, -1, 0
	v_or_b32_e32 v16, v16, v0
	v_lshlrev_b32_e32 v18, 2, v0
	v_mov_b32_e32 v19, v3
	s_addc_u32 s15, s29, s15
	v_mbcnt_hi_u32_b32 v35, -1, v6
	v_mov_b32_e32 v6, 0x80
	v_cmp_gt_i32_e64 s[2:3], s16, v0
	v_lshrrev_b32_e32 v32, 4, v0
	v_cmp_eq_u32_e64 s[6:7], 0, v0
	v_lshl_add_u64 v[10:11], v[4:5], 2, s[28:29]
	v_and_b32_e32 v12, 0xfffffc00, v12
	v_or_b32_e32 v4, 0x100, v0
	v_mov_b32_e32 v2, v0
	v_mov_b32_e32 v5, v3
	v_lshlrev_b32_e32 v33, 2, v0
	v_lshl_add_u64 v[20:21], s[14:15], 0, v[18:19]
	s_mov_b64 s[28:29], 0
	s_mov_b64 s[30:31], 0x400
	v_mov_b32_e32 v34, 0x2004
	s_mov_b64 s[34:35], 0x200
	s_mov_b64 s[36:37], 0x800
	v_lshlrev_b64 v[22:23], 2, v[16:17]
	s_mov_b64 s[38:39], 0x100
	v_mov_b64_e32 v[24:25], s[18:19]
	v_and_b32_e32 v36, 63, v35
	v_lshl_or_b32 v37, v35, 2, v6
	s_xor_b64 s[18:19], vcc, -1
	s_branch .LBB32_13
.LBB32_12:                              ;   in Loop: Header=BB32_13 Depth=1
	s_or_b64 exec, exec, s[40:41]
	s_add_u32 s24, s24, 64
	s_addc_u32 s25, s25, 0
	s_add_u32 s28, s28, 1
	s_addc_u32 s29, s29, 0
	s_add_u32 s14, s14, s22
	v_cmp_ge_i64_e32 vcc, s[24:25], v[24:25]
	v_lshl_add_u64 v[20:21], v[20:21], 0, s[22:23]
	s_addc_u32 s15, s15, s23
	s_cbranch_vccnz .LBB32_39
.LBB32_13:                              ; =>This Loop Header: Depth=1
                                        ;     Child Loop BB32_15 Depth 2
                                        ;     Child Loop BB32_31 Depth 2
	;; [unrolled: 1-line block ×3, first 2 shown]
	v_mov_b32_e32 v8, 0
	s_and_saveexec_b64 s[40:41], s[2:3]
	s_cbranch_execz .LBB32_17
; %bb.14:                               ;   in Loop: Header=BB32_13 Depth=1
	v_mov_b32_e32 v8, 0
	s_mov_b64 s[42:43], 0
	v_mov_b64_e32 v[6:7], v[20:21]
	v_mov_b32_e32 v9, v33
	v_mov_b32_e32 v26, v0
.LBB32_15:                              ;   Parent Loop BB32_13 Depth=1
                                        ; =>  This Inner Loop Header: Depth=2
	flat_load_dword v27, v[6:7]
	ds_read_b32 v28, v9
	v_add_u32_e32 v26, 0x100, v26
	v_cmp_le_i32_e32 vcc, s16, v26
	v_add_u32_e32 v9, 0x400, v9
	v_lshl_add_u64 v[6:7], v[6:7], 0, s[30:31]
	s_or_b64 s[42:43], vcc, s[42:43]
	s_waitcnt vmcnt(0) lgkmcnt(0)
	v_fmac_f32_e32 v8, v28, v27
	s_andn2_b64 exec, exec, s[42:43]
	s_cbranch_execnz .LBB32_15
; %bb.16:                               ;   in Loop: Header=BB32_13 Depth=1
	s_or_b64 exec, exec, s[42:43]
.LBB32_17:                              ;   in Loop: Header=BB32_13 Depth=1
	s_or_b64 exec, exec, s[40:41]
	s_and_b64 vcc, exec, s[20:21]
	s_cbranch_vccz .LBB32_24
; %bb.18:                               ;   in Loop: Header=BB32_13 Depth=1
	v_cmp_ne_u32_e32 vcc, 63, v36
	s_nop 1
	v_addc_co_u32_e32 v6, vcc, 0, v35, vcc
	v_lshlrev_b32_e32 v6, 2, v6
	ds_bpermute_b32 v6, v6, v8
	v_cmp_gt_u32_e32 vcc, 62, v36
	s_waitcnt lgkmcnt(0)
	v_add_f32_e32 v6, v8, v6
	v_cndmask_b32_e64 v7, 0, 2, vcc
	v_add_lshl_u32 v7, v7, v35, 2
	ds_bpermute_b32 v7, v7, v6
	v_cmp_gt_u32_e32 vcc, 60, v36
	s_waitcnt lgkmcnt(0)
	v_add_f32_e32 v6, v6, v7
	v_cndmask_b32_e64 v9, 0, 4, vcc
	v_add_lshl_u32 v9, v9, v35, 2
	;; [unrolled: 6-line block ×4, first 2 shown]
	ds_bpermute_b32 v7, v7, v6
	s_waitcnt lgkmcnt(0)
	v_add_f32_e32 v6, v6, v7
	ds_bpermute_b32 v7, v37, v6
	s_waitcnt lgkmcnt(0)
	v_add_f32_e32 v7, v6, v7
	s_and_saveexec_b64 s[40:41], s[4:5]
; %bb.19:                               ;   in Loop: Header=BB32_13 Depth=1
	ds_write_b32 v32, v7 offset:8192
; %bb.20:                               ;   in Loop: Header=BB32_13 Depth=1
	s_or_b64 exec, exec, s[40:41]
	s_mov_b64 s[42:43], 0
	s_mov_b64 s[40:41], 0
	s_waitcnt lgkmcnt(0)
	s_barrier
                                        ; implicit-def: $vgpr6
	s_and_saveexec_b64 s[44:45], s[6:7]
	s_xor_b64 s[44:45], exec, s[44:45]
	s_cbranch_execz .LBB32_22
; %bb.21:                               ;   in Loop: Header=BB32_13 Depth=1
	ds_read2_b32 v[26:27], v34 offset1:1
	ds_read_b32 v6, v3 offset:8204
	s_mov_b64 s[40:41], exec
	s_waitcnt lgkmcnt(0)
	v_add_f32_e32 v7, v7, v26
	v_add_f32_e32 v7, v7, v27
	s_waitcnt lgkmcnt(0)
	v_add_f32_e32 v6, v7, v6
.LBB32_22:                              ;   in Loop: Header=BB32_13 Depth=1
	s_or_b64 exec, exec, s[44:45]
	s_and_b64 vcc, exec, s[42:43]
	s_cbranch_vccnz .LBB32_25
.LBB32_23:                              ;   in Loop: Header=BB32_13 Depth=1
	v_mov_b32_e32 v8, v6
	s_and_saveexec_b64 s[42:43], s[40:41]
	s_cbranch_execnz .LBB32_26
	s_branch .LBB32_27
.LBB32_24:                              ;   in Loop: Header=BB32_13 Depth=1
	s_mov_b64 s[40:41], 0
                                        ; implicit-def: $vgpr6
	s_cbranch_execz .LBB32_23
.LBB32_25:                              ;   in Loop: Header=BB32_13 Depth=1
	s_andn2_b64 s[40:41], s[40:41], exec
	s_and_b64 s[42:43], s[6:7], exec
	s_or_b64 s[40:41], s[40:41], s[42:43]
	s_and_saveexec_b64 s[42:43], s[40:41]
.LBB32_26:                              ;   in Loop: Header=BB32_13 Depth=1
	ds_write_b32 v3, v8 offset:8192
.LBB32_27:                              ;   in Loop: Header=BB32_13 Depth=1
	s_or_b64 exec, exec, s[42:43]
	s_waitcnt lgkmcnt(0)
	s_barrier
	s_and_saveexec_b64 s[40:41], s[12:13]
	s_cbranch_execz .LBB32_12
; %bb.28:                               ;   in Loop: Header=BB32_13 Depth=1
	global_load_dword v8, v3, s[0:1]
	ds_read_b32 v9, v3 offset:8192
	s_mov_b64 s[44:45], s[26:27]
	v_mov_b64_e32 v[6:7], v[0:1]
	s_waitcnt vmcnt(0) lgkmcnt(0)
	v_mul_f32_e64 v26, v9, -v8
	v_mov_b64_e32 v[8:9], v[18:19]
	s_and_saveexec_b64 s[42:43], s[8:9]
	s_cbranch_execz .LBB32_36
; %bb.29:                               ;   in Loop: Header=BB32_13 Depth=1
	s_mul_i32 s33, s23, s28
	s_mul_i32 s44, s22, s29
	v_mov_b32_e32 v6, s28
	s_add_i32 s33, s44, s33
	v_mad_u64_u32 v[6:7], s[44:45], s22, v6, v[10:11]
	v_add_u32_e32 v7, s33, v7
	v_lshl_add_u64 v[8:9], v[6:7], 0, v[12:13]
	v_cmp_ge_u64_e32 vcc, v[8:9], v[6:7]
	s_mov_b64 s[46:47], -1
	s_and_b64 s[48:49], vcc, s[18:19]
	v_mov_b64_e32 v[6:7], v[0:1]
	v_mov_b64_e32 v[8:9], v[18:19]
	s_and_saveexec_b64 s[44:45], s[48:49]
	s_cbranch_execz .LBB32_35
; %bb.30:                               ;   in Loop: Header=BB32_13 Depth=1
	v_mov_b64_e32 v[8:9], v[4:5]
	v_mov_b32_e32 v27, v26
	s_mov_b64 s[46:47], 0
	v_mov_b64_e32 v[28:29], v[14:15]
	v_mov_b64_e32 v[30:31], v[20:21]
	;; [unrolled: 1-line block ×3, first 2 shown]
.LBB32_31:                              ;   Parent Loop BB32_13 Depth=1
                                        ; =>  This Inner Loop Header: Depth=2
	flat_load_dword v38, v[30:31]
	flat_load_dword v39, v[30:31] offset:1024
	v_lshlrev_b32_e32 v40, 2, v6
	v_lshlrev_b32_e32 v41, 2, v8
	ds_read_b32 v40, v40
	ds_read_b32 v41, v41
	v_lshl_add_u64 v[28:29], v[28:29], 0, -2
	v_cmp_eq_u64_e32 vcc, 0, v[28:29]
	v_lshl_add_u64 v[8:9], v[8:9], 0, s[34:35]
	v_lshl_add_u64 v[6:7], v[6:7], 0, s[34:35]
	s_or_b64 s[46:47], vcc, s[46:47]
	s_waitcnt vmcnt(0) lgkmcnt(0)
	v_pk_fma_f32 v[38:39], v[26:27], v[40:41], v[38:39]
	flat_store_dword v[30:31], v38
	flat_store_dword v[30:31], v39 offset:1024
	v_lshl_add_u64 v[30:31], v[30:31], 0, s[36:37]
	s_andn2_b64 exec, exec, s[46:47]
	s_cbranch_execnz .LBB32_31
; %bb.32:                               ;   in Loop: Header=BB32_13 Depth=1
	s_or_b64 exec, exec, s[46:47]
	s_mov_b64 s[46:47], 0
	s_and_saveexec_b64 s[48:49], s[10:11]
; %bb.33:                               ;   in Loop: Header=BB32_13 Depth=1
	s_mov_b64 s[46:47], exec
; %bb.34:                               ;   in Loop: Header=BB32_13 Depth=1
	s_or_b64 exec, exec, s[48:49]
	s_orn2_b64 s[46:47], s[46:47], exec
	v_mov_b64_e32 v[6:7], v[16:17]
	v_mov_b64_e32 v[8:9], v[22:23]
.LBB32_35:                              ;   in Loop: Header=BB32_13 Depth=1
	s_or_b64 exec, exec, s[44:45]
	s_andn2_b64 s[44:45], s[26:27], exec
	s_and_b64 s[46:47], s[46:47], exec
	s_or_b64 s[44:45], s[44:45], s[46:47]
.LBB32_36:                              ;   in Loop: Header=BB32_13 Depth=1
	s_or_b64 exec, exec, s[42:43]
	s_and_b64 exec, exec, s[44:45]
	s_cbranch_execz .LBB32_12
; %bb.37:                               ;   in Loop: Header=BB32_13 Depth=1
	v_lshlrev_b32_e32 v27, 2, v6
	v_lshl_add_u64 v[8:9], s[14:15], 0, v[8:9]
	s_mov_b64 s[42:43], 0
.LBB32_38:                              ;   Parent Loop BB32_13 Depth=1
                                        ; =>  This Inner Loop Header: Depth=2
	flat_load_dword v28, v[8:9]
	ds_read_b32 v29, v27
	v_lshl_add_u64 v[6:7], v[6:7], 0, s[38:39]
	v_cmp_le_i64_e32 vcc, s[16:17], v[6:7]
	v_add_u32_e32 v27, 0x400, v27
	s_or_b64 s[42:43], vcc, s[42:43]
	s_waitcnt vmcnt(0) lgkmcnt(0)
	v_fmac_f32_e32 v28, v26, v29
	flat_store_dword v[8:9], v28
	v_lshl_add_u64 v[8:9], v[8:9], 0, s[30:31]
	s_andn2_b64 exec, exec, s[42:43]
	s_cbranch_execnz .LBB32_38
	s_branch .LBB32_12
.LBB32_39:
	s_endpgm
	.section	.rodata,"a",@progbits
	.p2align	6, 0x0
	.amdhsa_kernel _ZN9rocsolver6v33100L22larf_left_kernel_smallILi256EflPKPfEEvT1_S5_T2_lS5_lPKT0_lS6_lS5_l
		.amdhsa_group_segment_fixed_size 9216
		.amdhsa_private_segment_fixed_size 0
		.amdhsa_kernarg_size 96
		.amdhsa_user_sgpr_count 2
		.amdhsa_user_sgpr_dispatch_ptr 0
		.amdhsa_user_sgpr_queue_ptr 0
		.amdhsa_user_sgpr_kernarg_segment_ptr 1
		.amdhsa_user_sgpr_dispatch_id 0
		.amdhsa_user_sgpr_kernarg_preload_length 0
		.amdhsa_user_sgpr_kernarg_preload_offset 0
		.amdhsa_user_sgpr_private_segment_size 0
		.amdhsa_uses_dynamic_stack 0
		.amdhsa_enable_private_segment 0
		.amdhsa_system_sgpr_workgroup_id_x 1
		.amdhsa_system_sgpr_workgroup_id_y 1
		.amdhsa_system_sgpr_workgroup_id_z 0
		.amdhsa_system_sgpr_workgroup_info 0
		.amdhsa_system_vgpr_workitem_id 0
		.amdhsa_next_free_vgpr 42
		.amdhsa_next_free_sgpr 50
		.amdhsa_accum_offset 44
		.amdhsa_reserve_vcc 1
		.amdhsa_float_round_mode_32 0
		.amdhsa_float_round_mode_16_64 0
		.amdhsa_float_denorm_mode_32 3
		.amdhsa_float_denorm_mode_16_64 3
		.amdhsa_dx10_clamp 1
		.amdhsa_ieee_mode 1
		.amdhsa_fp16_overflow 0
		.amdhsa_tg_split 0
		.amdhsa_exception_fp_ieee_invalid_op 0
		.amdhsa_exception_fp_denorm_src 0
		.amdhsa_exception_fp_ieee_div_zero 0
		.amdhsa_exception_fp_ieee_overflow 0
		.amdhsa_exception_fp_ieee_underflow 0
		.amdhsa_exception_fp_ieee_inexact 0
		.amdhsa_exception_int_div_zero 0
	.end_amdhsa_kernel
	.section	.text._ZN9rocsolver6v33100L22larf_left_kernel_smallILi256EflPKPfEEvT1_S5_T2_lS5_lPKT0_lS6_lS5_l,"axG",@progbits,_ZN9rocsolver6v33100L22larf_left_kernel_smallILi256EflPKPfEEvT1_S5_T2_lS5_lPKT0_lS6_lS5_l,comdat
.Lfunc_end32:
	.size	_ZN9rocsolver6v33100L22larf_left_kernel_smallILi256EflPKPfEEvT1_S5_T2_lS5_lPKT0_lS6_lS5_l, .Lfunc_end32-_ZN9rocsolver6v33100L22larf_left_kernel_smallILi256EflPKPfEEvT1_S5_T2_lS5_lPKT0_lS6_lS5_l
                                        ; -- End function
	.set _ZN9rocsolver6v33100L22larf_left_kernel_smallILi256EflPKPfEEvT1_S5_T2_lS5_lPKT0_lS6_lS5_l.num_vgpr, 42
	.set _ZN9rocsolver6v33100L22larf_left_kernel_smallILi256EflPKPfEEvT1_S5_T2_lS5_lPKT0_lS6_lS5_l.num_agpr, 0
	.set _ZN9rocsolver6v33100L22larf_left_kernel_smallILi256EflPKPfEEvT1_S5_T2_lS5_lPKT0_lS6_lS5_l.numbered_sgpr, 50
	.set _ZN9rocsolver6v33100L22larf_left_kernel_smallILi256EflPKPfEEvT1_S5_T2_lS5_lPKT0_lS6_lS5_l.num_named_barrier, 0
	.set _ZN9rocsolver6v33100L22larf_left_kernel_smallILi256EflPKPfEEvT1_S5_T2_lS5_lPKT0_lS6_lS5_l.private_seg_size, 0
	.set _ZN9rocsolver6v33100L22larf_left_kernel_smallILi256EflPKPfEEvT1_S5_T2_lS5_lPKT0_lS6_lS5_l.uses_vcc, 1
	.set _ZN9rocsolver6v33100L22larf_left_kernel_smallILi256EflPKPfEEvT1_S5_T2_lS5_lPKT0_lS6_lS5_l.uses_flat_scratch, 0
	.set _ZN9rocsolver6v33100L22larf_left_kernel_smallILi256EflPKPfEEvT1_S5_T2_lS5_lPKT0_lS6_lS5_l.has_dyn_sized_stack, 0
	.set _ZN9rocsolver6v33100L22larf_left_kernel_smallILi256EflPKPfEEvT1_S5_T2_lS5_lPKT0_lS6_lS5_l.has_recursion, 0
	.set _ZN9rocsolver6v33100L22larf_left_kernel_smallILi256EflPKPfEEvT1_S5_T2_lS5_lPKT0_lS6_lS5_l.has_indirect_call, 0
	.section	.AMDGPU.csdata,"",@progbits
; Kernel info:
; codeLenInByte = 1984
; TotalNumSgprs: 56
; NumVgprs: 42
; NumAgprs: 0
; TotalNumVgprs: 42
; ScratchSize: 0
; MemoryBound: 0
; FloatMode: 240
; IeeeMode: 1
; LDSByteSize: 9216 bytes/workgroup (compile time only)
; SGPRBlocks: 6
; VGPRBlocks: 5
; NumSGPRsForWavesPerEU: 56
; NumVGPRsForWavesPerEU: 42
; AccumOffset: 44
; Occupancy: 8
; WaveLimiterHint : 1
; COMPUTE_PGM_RSRC2:SCRATCH_EN: 0
; COMPUTE_PGM_RSRC2:USER_SGPR: 2
; COMPUTE_PGM_RSRC2:TRAP_HANDLER: 0
; COMPUTE_PGM_RSRC2:TGID_X_EN: 1
; COMPUTE_PGM_RSRC2:TGID_Y_EN: 1
; COMPUTE_PGM_RSRC2:TGID_Z_EN: 0
; COMPUTE_PGM_RSRC2:TIDIG_COMP_CNT: 0
; COMPUTE_PGM_RSRC3_GFX90A:ACCUM_OFFSET: 10
; COMPUTE_PGM_RSRC3_GFX90A:TG_SPLIT: 0
	.section	.text._ZN9rocsolver6v33100L22larf_left_kernel_smallILi512EflPKPfEEvT1_S5_T2_lS5_lPKT0_lS6_lS5_l,"axG",@progbits,_ZN9rocsolver6v33100L22larf_left_kernel_smallILi512EflPKPfEEvT1_S5_T2_lS5_lPKT0_lS6_lS5_l,comdat
	.globl	_ZN9rocsolver6v33100L22larf_left_kernel_smallILi512EflPKPfEEvT1_S5_T2_lS5_lPKT0_lS6_lS5_l ; -- Begin function _ZN9rocsolver6v33100L22larf_left_kernel_smallILi512EflPKPfEEvT1_S5_T2_lS5_lPKT0_lS6_lS5_l
	.p2align	8
	.type	_ZN9rocsolver6v33100L22larf_left_kernel_smallILi512EflPKPfEEvT1_S5_T2_lS5_lPKT0_lS6_lS5_l,@function
_ZN9rocsolver6v33100L22larf_left_kernel_smallILi512EflPKPfEEvT1_S5_T2_lS5_lPKT0_lS6_lS5_l: ; @_ZN9rocsolver6v33100L22larf_left_kernel_smallILi512EflPKPfEEvT1_S5_T2_lS5_lPKT0_lS6_lS5_l
; %bb.0:
	s_load_dwordx8 s[16:23], s[0:1], 0x0
	s_load_dwordx2 s[4:5], s[0:1], 0x20
	s_load_dwordx8 s[8:15], s[0:1], 0x30
	s_mov_b32 s24, s3
	s_mov_b32 s3, 0
	s_lshl_b64 s[6:7], s[2:3], 3
	s_waitcnt lgkmcnt(0)
	s_add_u32 s26, s20, s6
	s_addc_u32 s27, s21, s7
	s_add_u32 s6, s12, s6
	s_addc_u32 s7, s13, s7
	v_cmp_gt_i64_e64 s[12:13], s[4:5], 0
	s_mov_b64 s[20:21], 0
	s_and_b64 vcc, exec, s[12:13]
	s_cbranch_vccnz .LBB33_2
; %bb.1:
	s_sub_u32 s3, 1, s16
	s_subb_u32 s12, 0, s17
	s_mul_i32 s12, s4, s12
	s_mul_hi_u32 s13, s4, s3
	s_add_i32 s12, s13, s12
	s_mul_i32 s13, s5, s3
	s_add_i32 s21, s12, s13
	s_mul_i32 s20, s4, s3
.LBB33_2:
	s_load_dwordx2 s[28:29], s[6:7], 0x0
	v_mov_b32_e32 v1, 0
	v_cmp_gt_i64_e64 s[12:13], s[16:17], v[0:1]
	v_not_b32_e32 v2, v0
	s_and_saveexec_b64 s[6:7], s[12:13]
	s_cbranch_execz .LBB33_10
; %bb.3:
	s_load_dwordx2 s[26:27], s[26:27], 0x0
	v_mov_b32_e32 v3, -1
	v_lshl_add_u64 v[4:5], s[16:17], 0, v[2:3]
	s_mov_b64 s[30:31], 0x1ff
	v_cmp_lt_u64_e32 vcc, s[30:31], v[4:5]
	s_mov_b64 s[34:35], -1
	v_mov_b64_e32 v[8:9], v[0:1]
	s_and_saveexec_b64 s[30:31], vcc
	s_cbranch_execz .LBB33_7
; %bb.4:
	s_lshl_b64 s[34:35], s[22:23], 2
	s_waitcnt lgkmcnt(0)
	s_add_u32 s3, s26, s34
	v_lshrrev_b64 v[4:5], 9, v[4:5]
	s_addc_u32 s25, s27, s35
	s_lshl_b64 s[34:35], s[20:21], 2
	v_lshl_add_u64 v[4:5], v[4:5], 0, 1
	s_add_u32 s34, s3, s34
	v_and_b32_e32 v6, -2, v4
	v_mov_b32_e32 v7, v5
	v_mov_b32_e32 v11, 0
	s_addc_u32 s35, s25, s35
	s_mov_b32 s3, s4
	s_mov_b32 s25, s5
	v_or_b32_e32 v8, 0x200, v0
	v_mov_b32_e32 v10, v0
	v_mov_b32_e32 v9, v11
	s_mov_b64 s[36:37], 0
	s_mov_b64 s[38:39], 0x400
	v_mov_b64_e32 v[12:13], v[6:7]
.LBB33_5:                               ; =>This Inner Loop Header: Depth=1
	v_mul_lo_u32 v19, v11, s4
	v_mul_lo_u32 v20, v10, s5
	v_mad_u64_u32 v[16:17], s[40:41], v10, s4, 0
	v_mul_lo_u32 v3, v9, s3
	v_mul_lo_u32 v18, v8, s25
	v_mad_u64_u32 v[14:15], s[40:41], v8, s3, 0
	v_add3_u32 v17, v17, v20, v19
	v_add3_u32 v15, v15, v18, v3
	v_lshl_add_u64 v[16:17], v[16:17], 2, s[34:35]
	v_lshl_add_u64 v[14:15], v[14:15], 2, s[34:35]
	flat_load_dword v3, v[16:17]
	flat_load_dword v18, v[14:15]
	v_lshl_add_u64 v[12:13], v[12:13], 0, -2
	v_cmp_eq_u64_e32 vcc, 0, v[12:13]
	v_lshlrev_b32_e32 v14, 2, v10
	v_lshlrev_b32_e32 v15, 2, v8
	v_lshl_add_u64 v[8:9], v[8:9], 0, s[38:39]
	v_lshl_add_u64 v[10:11], v[10:11], 0, s[38:39]
	s_or_b64 s[36:37], vcc, s[36:37]
	s_waitcnt vmcnt(0) lgkmcnt(0)
	ds_write_b32 v14, v3
	ds_write_b32 v15, v18
	s_andn2_b64 exec, exec, s[36:37]
	s_cbranch_execnz .LBB33_5
; %bb.6:
	s_or_b64 exec, exec, s[36:37]
	v_lshlrev_b64 v[8:9], 9, v[6:7]
	v_cmp_ne_u64_e32 vcc, v[4:5], v[6:7]
	v_or_b32_e32 v8, v8, v0
	s_orn2_b64 s[34:35], vcc, exec
.LBB33_7:
	s_or_b64 exec, exec, s[30:31]
	s_and_b64 exec, exec, s[34:35]
	s_cbranch_execz .LBB33_10
; %bb.8:
	s_lshl_b64 s[20:21], s[20:21], 2
	s_lshl_b64 s[22:23], s[22:23], 2
	s_waitcnt lgkmcnt(0)
	s_add_u32 s3, s26, s22
	s_addc_u32 s22, s27, s23
	v_mul_lo_u32 v3, v9, s4
	v_mul_lo_u32 v6, v8, s5
	v_mad_u64_u32 v[4:5], s[30:31], v8, s4, 0
	s_add_u32 s20, s3, s20
	v_add3_u32 v5, v5, v6, v3
	s_addc_u32 s21, s22, s21
	v_lshl_add_u64 v[4:5], v[4:5], 2, s[20:21]
	s_lshl_b64 s[4:5], s[4:5], 11
	v_lshlrev_b32_e32 v3, 2, v8
	s_mov_b64 s[20:21], 0
	s_mov_b64 s[22:23], 0x200
.LBB33_9:                               ; =>This Inner Loop Header: Depth=1
	flat_load_dword v6, v[4:5]
	v_lshl_add_u64 v[8:9], v[8:9], 0, s[22:23]
	v_cmp_le_i64_e32 vcc, s[16:17], v[8:9]
	v_lshl_add_u64 v[4:5], v[4:5], 0, s[4:5]
	s_or_b64 s[20:21], vcc, s[20:21]
	s_waitcnt vmcnt(0) lgkmcnt(0)
	ds_write_b32 v3, v6
	v_add_u32_e32 v3, 0x800, v3
	s_andn2_b64 exec, exec, s[20:21]
	s_cbranch_execnz .LBB33_9
.LBB33_10:
	s_or_b64 exec, exec, s[6:7]
	s_mov_b32 s25, 0
	v_mov_b64_e32 v[4:5], s[24:25]
	v_cmp_le_i64_e32 vcc, s[18:19], v[4:5]
	s_waitcnt lgkmcnt(0)
	s_barrier
	s_cbranch_vccnz .LBB33_39
; %bb.11:
	s_load_dwordx2 s[22:23], s[0:1], 0x50
	s_mul_i32 s0, s11, s2
	s_mul_hi_u32 s1, s10, s2
	s_add_i32 s1, s1, s0
	s_mul_i32 s0, s10, s2
	s_lshl_b64 s[0:1], s[0:1], 2
	s_add_u32 s0, s8, s0
	s_addc_u32 s1, s9, s1
	s_cmp_gt_i32 s16, 1
	v_and_b32_e32 v3, 63, v0
	s_waitcnt lgkmcnt(0)
	s_mul_i32 s8, s23, s24
	s_mul_hi_u32 s9, s22, s24
	s_cselect_b64 s[20:21], -1, 0
	v_cmp_eq_u32_e64 s[4:5], 0, v3
	v_mov_b32_e32 v3, -1
	s_add_i32 s31, s9, s8
	s_mul_i32 s30, s22, s24
	v_lshl_add_u64 v[2:3], s[16:17], 0, v[2:3]
	s_add_u32 s8, s30, s14
	s_addc_u32 s9, s31, s15
	s_lshl_b64 s[22:23], s[22:23], 8
	v_lshrrev_b64 v[6:7], 9, v[2:3]
	s_lshl_b64 s[30:31], s[30:31], 2
	s_lshl_b64 s[14:15], s[14:15], 2
	v_lshl_add_u64 v[4:5], s[8:9], 0, v[0:1]
	v_lshl_add_u64 v[6:7], v[6:7], 0, 1
	s_mov_b64 s[8:9], 0x600
	s_mov_b32 s10, -1
	s_add_u32 s14, s30, s14
	v_cmp_gt_u64_e64 s[26:27], s[8:9], v[2:3]
	s_mov_b64 s[8:9], 0x5ff
	s_brev_b32 s11, -4
	v_and_b32_e32 v14, -2, v6
	v_mov_b32_e32 v15, v7
	s_addc_u32 s15, s31, s15
	v_cmp_lt_u64_e64 s[8:9], s[8:9], v[2:3]
	v_lshlrev_b64 v[12:13], 2, v[2:3]
	v_cmp_lt_u64_e32 vcc, s[10:11], v[2:3]
	v_lshlrev_b64 v[16:17], 9, v[14:15]
	v_mov_b32_e32 v3, 0
	v_cmp_ne_u64_e64 s[10:11], v[6:7], v[14:15]
	s_add_u32 s14, s28, s14
	v_mbcnt_lo_u32_b32 v6, -1, 0
	v_or_b32_e32 v16, v16, v0
	v_lshlrev_b32_e32 v18, 2, v0
	v_mov_b32_e32 v19, v3
	s_addc_u32 s15, s29, s15
	v_mbcnt_hi_u32_b32 v37, -1, v6
	v_mov_b32_e32 v6, 0x80
	v_cmp_gt_i32_e64 s[2:3], s16, v0
	v_lshrrev_b32_e32 v32, 4, v0
	v_cmp_eq_u32_e64 s[6:7], 0, v0
	v_lshl_add_u64 v[10:11], v[4:5], 2, s[28:29]
	v_and_b32_e32 v12, 0xfffff800, v12
	v_or_b32_e32 v4, 0x200, v0
	v_mov_b32_e32 v2, v0
	v_mov_b32_e32 v5, v3
	v_lshlrev_b32_e32 v33, 2, v0
	v_lshl_add_u64 v[20:21], s[14:15], 0, v[18:19]
	s_mov_b64 s[28:29], 0
	s_mov_b64 s[30:31], 0x800
	v_mov_b32_e32 v34, 0x2004
	v_mov_b32_e32 v35, 0x200c
	;; [unrolled: 1-line block ×3, first 2 shown]
	s_mov_b64 s[34:35], 0x400
	s_mov_b64 s[36:37], 0x1000
	v_lshlrev_b64 v[22:23], 2, v[16:17]
	s_mov_b64 s[38:39], 0x200
	v_and_b32_e32 v38, 63, v37
	v_lshl_or_b32 v39, v37, 2, v6
	s_xor_b64 s[40:41], vcc, -1
	v_mov_b64_e32 v[24:25], s[18:19]
	s_branch .LBB33_13
.LBB33_12:                              ;   in Loop: Header=BB33_13 Depth=1
	s_or_b64 exec, exec, s[18:19]
	s_add_u32 s24, s24, 64
	s_addc_u32 s25, s25, 0
	s_add_u32 s28, s28, 1
	s_addc_u32 s29, s29, 0
	s_add_u32 s14, s14, s22
	v_cmp_ge_i64_e32 vcc, s[24:25], v[24:25]
	v_lshl_add_u64 v[20:21], v[20:21], 0, s[22:23]
	s_addc_u32 s15, s15, s23
	s_cbranch_vccnz .LBB33_39
.LBB33_13:                              ; =>This Loop Header: Depth=1
                                        ;     Child Loop BB33_15 Depth 2
                                        ;     Child Loop BB33_31 Depth 2
	;; [unrolled: 1-line block ×3, first 2 shown]
	v_mov_b32_e32 v8, 0
	s_and_saveexec_b64 s[18:19], s[2:3]
	s_cbranch_execz .LBB33_17
; %bb.14:                               ;   in Loop: Header=BB33_13 Depth=1
	v_mov_b32_e32 v8, 0
	s_mov_b64 s[42:43], 0
	v_mov_b64_e32 v[6:7], v[20:21]
	v_mov_b32_e32 v9, v33
	v_mov_b32_e32 v26, v0
.LBB33_15:                              ;   Parent Loop BB33_13 Depth=1
                                        ; =>  This Inner Loop Header: Depth=2
	flat_load_dword v27, v[6:7]
	ds_read_b32 v28, v9
	v_add_u32_e32 v26, 0x200, v26
	v_cmp_le_i32_e32 vcc, s16, v26
	v_add_u32_e32 v9, 0x800, v9
	v_lshl_add_u64 v[6:7], v[6:7], 0, s[30:31]
	s_or_b64 s[42:43], vcc, s[42:43]
	s_waitcnt vmcnt(0) lgkmcnt(0)
	v_fmac_f32_e32 v8, v28, v27
	s_andn2_b64 exec, exec, s[42:43]
	s_cbranch_execnz .LBB33_15
; %bb.16:                               ;   in Loop: Header=BB33_13 Depth=1
	s_or_b64 exec, exec, s[42:43]
.LBB33_17:                              ;   in Loop: Header=BB33_13 Depth=1
	s_or_b64 exec, exec, s[18:19]
	s_and_b64 vcc, exec, s[20:21]
	s_cbranch_vccz .LBB33_24
; %bb.18:                               ;   in Loop: Header=BB33_13 Depth=1
	v_cmp_ne_u32_e32 vcc, 63, v38
	s_nop 1
	v_addc_co_u32_e32 v6, vcc, 0, v37, vcc
	v_lshlrev_b32_e32 v6, 2, v6
	ds_bpermute_b32 v6, v6, v8
	v_cmp_gt_u32_e32 vcc, 62, v38
	s_waitcnt lgkmcnt(0)
	v_add_f32_e32 v6, v8, v6
	v_cndmask_b32_e64 v7, 0, 2, vcc
	v_add_lshl_u32 v7, v7, v37, 2
	ds_bpermute_b32 v7, v7, v6
	v_cmp_gt_u32_e32 vcc, 60, v38
	s_waitcnt lgkmcnt(0)
	v_add_f32_e32 v6, v6, v7
	v_cndmask_b32_e64 v9, 0, 4, vcc
	v_add_lshl_u32 v9, v9, v37, 2
	;; [unrolled: 6-line block ×4, first 2 shown]
	ds_bpermute_b32 v7, v7, v6
	s_waitcnt lgkmcnt(0)
	v_add_f32_e32 v6, v6, v7
	ds_bpermute_b32 v7, v39, v6
	s_waitcnt lgkmcnt(0)
	v_add_f32_e32 v6, v6, v7
	s_and_saveexec_b64 s[18:19], s[4:5]
; %bb.19:                               ;   in Loop: Header=BB33_13 Depth=1
	ds_write_b32 v32, v6 offset:8192
; %bb.20:                               ;   in Loop: Header=BB33_13 Depth=1
	s_or_b64 exec, exec, s[18:19]
	s_mov_b64 s[42:43], 0
	s_mov_b64 s[18:19], 0
	s_waitcnt lgkmcnt(0)
	s_barrier
                                        ; implicit-def: $vgpr7
	s_and_saveexec_b64 s[44:45], s[6:7]
	s_xor_b64 s[44:45], exec, s[44:45]
	s_cbranch_execz .LBB33_22
; %bb.21:                               ;   in Loop: Header=BB33_13 Depth=1
	ds_read2_b32 v[26:27], v34 offset1:1
	ds_read2_b32 v[28:29], v35 offset1:1
	;; [unrolled: 1-line block ×3, first 2 shown]
	ds_read_b32 v7, v3 offset:8220
	s_mov_b64 s[18:19], exec
	s_waitcnt lgkmcnt(0)
	v_add_f32_e32 v6, v6, v26
	v_add_f32_e32 v6, v6, v27
	s_waitcnt lgkmcnt(2)
	v_add_f32_e32 v6, v6, v28
	v_add_f32_e32 v6, v6, v29
	;; [unrolled: 3-line block ×3, first 2 shown]
	s_waitcnt lgkmcnt(0)
	v_add_f32_e32 v7, v6, v7
.LBB33_22:                              ;   in Loop: Header=BB33_13 Depth=1
	s_or_b64 exec, exec, s[44:45]
	s_and_b64 vcc, exec, s[42:43]
	s_cbranch_vccnz .LBB33_25
.LBB33_23:                              ;   in Loop: Header=BB33_13 Depth=1
	v_mov_b32_e32 v8, v7
	s_and_saveexec_b64 s[42:43], s[18:19]
	s_cbranch_execnz .LBB33_26
	s_branch .LBB33_27
.LBB33_24:                              ;   in Loop: Header=BB33_13 Depth=1
	s_mov_b64 s[18:19], 0
                                        ; implicit-def: $vgpr7
	s_cbranch_execz .LBB33_23
.LBB33_25:                              ;   in Loop: Header=BB33_13 Depth=1
	s_andn2_b64 s[18:19], s[18:19], exec
	s_and_b64 s[42:43], s[6:7], exec
	s_or_b64 s[18:19], s[18:19], s[42:43]
	s_and_saveexec_b64 s[42:43], s[18:19]
.LBB33_26:                              ;   in Loop: Header=BB33_13 Depth=1
	ds_write_b32 v3, v8 offset:8192
.LBB33_27:                              ;   in Loop: Header=BB33_13 Depth=1
	s_or_b64 exec, exec, s[42:43]
	s_waitcnt lgkmcnt(0)
	s_barrier
	s_and_saveexec_b64 s[18:19], s[12:13]
	s_cbranch_execz .LBB33_12
; %bb.28:                               ;   in Loop: Header=BB33_13 Depth=1
	global_load_dword v8, v3, s[0:1]
	ds_read_b32 v9, v3 offset:8192
	s_mov_b64 s[44:45], s[26:27]
	v_mov_b64_e32 v[6:7], v[0:1]
	s_waitcnt vmcnt(0) lgkmcnt(0)
	v_mul_f32_e64 v26, v9, -v8
	v_mov_b64_e32 v[8:9], v[18:19]
	s_and_saveexec_b64 s[42:43], s[8:9]
	s_cbranch_execz .LBB33_36
; %bb.29:                               ;   in Loop: Header=BB33_13 Depth=1
	s_mul_i32 s33, s23, s28
	s_mul_i32 s44, s22, s29
	v_mov_b32_e32 v6, s28
	s_add_i32 s33, s44, s33
	v_mad_u64_u32 v[6:7], s[44:45], s22, v6, v[10:11]
	v_add_u32_e32 v7, s33, v7
	v_lshl_add_u64 v[8:9], v[6:7], 0, v[12:13]
	v_cmp_ge_u64_e32 vcc, v[8:9], v[6:7]
	s_mov_b64 s[46:47], -1
	s_and_b64 s[48:49], vcc, s[40:41]
	v_mov_b64_e32 v[6:7], v[0:1]
	v_mov_b64_e32 v[8:9], v[18:19]
	s_and_saveexec_b64 s[44:45], s[48:49]
	s_cbranch_execz .LBB33_35
; %bb.30:                               ;   in Loop: Header=BB33_13 Depth=1
	v_mov_b64_e32 v[8:9], v[4:5]
	v_mov_b32_e32 v27, v26
	s_mov_b64 s[46:47], 0
	v_mov_b64_e32 v[28:29], v[14:15]
	v_mov_b64_e32 v[30:31], v[20:21]
	;; [unrolled: 1-line block ×3, first 2 shown]
.LBB33_31:                              ;   Parent Loop BB33_13 Depth=1
                                        ; =>  This Inner Loop Header: Depth=2
	flat_load_dword v40, v[30:31]
	flat_load_dword v41, v[30:31] offset:2048
	v_lshlrev_b32_e32 v42, 2, v6
	v_lshlrev_b32_e32 v43, 2, v8
	ds_read_b32 v42, v42
	ds_read_b32 v43, v43
	v_lshl_add_u64 v[28:29], v[28:29], 0, -2
	v_cmp_eq_u64_e32 vcc, 0, v[28:29]
	v_lshl_add_u64 v[8:9], v[8:9], 0, s[34:35]
	v_lshl_add_u64 v[6:7], v[6:7], 0, s[34:35]
	s_or_b64 s[46:47], vcc, s[46:47]
	s_waitcnt vmcnt(0) lgkmcnt(0)
	v_pk_fma_f32 v[40:41], v[26:27], v[42:43], v[40:41]
	flat_store_dword v[30:31], v40
	flat_store_dword v[30:31], v41 offset:2048
	v_lshl_add_u64 v[30:31], v[30:31], 0, s[36:37]
	s_andn2_b64 exec, exec, s[46:47]
	s_cbranch_execnz .LBB33_31
; %bb.32:                               ;   in Loop: Header=BB33_13 Depth=1
	s_or_b64 exec, exec, s[46:47]
	s_mov_b64 s[46:47], 0
	s_and_saveexec_b64 s[48:49], s[10:11]
; %bb.33:                               ;   in Loop: Header=BB33_13 Depth=1
	s_mov_b64 s[46:47], exec
; %bb.34:                               ;   in Loop: Header=BB33_13 Depth=1
	s_or_b64 exec, exec, s[48:49]
	s_orn2_b64 s[46:47], s[46:47], exec
	v_mov_b64_e32 v[6:7], v[16:17]
	v_mov_b64_e32 v[8:9], v[22:23]
.LBB33_35:                              ;   in Loop: Header=BB33_13 Depth=1
	s_or_b64 exec, exec, s[44:45]
	s_andn2_b64 s[44:45], s[26:27], exec
	s_and_b64 s[46:47], s[46:47], exec
	s_or_b64 s[44:45], s[44:45], s[46:47]
.LBB33_36:                              ;   in Loop: Header=BB33_13 Depth=1
	s_or_b64 exec, exec, s[42:43]
	s_and_b64 exec, exec, s[44:45]
	s_cbranch_execz .LBB33_12
; %bb.37:                               ;   in Loop: Header=BB33_13 Depth=1
	v_lshlrev_b32_e32 v27, 2, v6
	v_lshl_add_u64 v[8:9], s[14:15], 0, v[8:9]
	s_mov_b64 s[42:43], 0
.LBB33_38:                              ;   Parent Loop BB33_13 Depth=1
                                        ; =>  This Inner Loop Header: Depth=2
	flat_load_dword v28, v[8:9]
	ds_read_b32 v29, v27
	v_lshl_add_u64 v[6:7], v[6:7], 0, s[38:39]
	v_cmp_le_i64_e32 vcc, s[16:17], v[6:7]
	v_add_u32_e32 v27, 0x800, v27
	s_or_b64 s[42:43], vcc, s[42:43]
	s_waitcnt vmcnt(0) lgkmcnt(0)
	v_fmac_f32_e32 v28, v26, v29
	flat_store_dword v[8:9], v28
	v_lshl_add_u64 v[8:9], v[8:9], 0, s[30:31]
	s_andn2_b64 exec, exec, s[42:43]
	s_cbranch_execnz .LBB33_38
	s_branch .LBB33_12
.LBB33_39:
	s_endpgm
	.section	.rodata,"a",@progbits
	.p2align	6, 0x0
	.amdhsa_kernel _ZN9rocsolver6v33100L22larf_left_kernel_smallILi512EflPKPfEEvT1_S5_T2_lS5_lPKT0_lS6_lS5_l
		.amdhsa_group_segment_fixed_size 10240
		.amdhsa_private_segment_fixed_size 0
		.amdhsa_kernarg_size 96
		.amdhsa_user_sgpr_count 2
		.amdhsa_user_sgpr_dispatch_ptr 0
		.amdhsa_user_sgpr_queue_ptr 0
		.amdhsa_user_sgpr_kernarg_segment_ptr 1
		.amdhsa_user_sgpr_dispatch_id 0
		.amdhsa_user_sgpr_kernarg_preload_length 0
		.amdhsa_user_sgpr_kernarg_preload_offset 0
		.amdhsa_user_sgpr_private_segment_size 0
		.amdhsa_uses_dynamic_stack 0
		.amdhsa_enable_private_segment 0
		.amdhsa_system_sgpr_workgroup_id_x 1
		.amdhsa_system_sgpr_workgroup_id_y 1
		.amdhsa_system_sgpr_workgroup_id_z 0
		.amdhsa_system_sgpr_workgroup_info 0
		.amdhsa_system_vgpr_workitem_id 0
		.amdhsa_next_free_vgpr 44
		.amdhsa_next_free_sgpr 50
		.amdhsa_accum_offset 44
		.amdhsa_reserve_vcc 1
		.amdhsa_float_round_mode_32 0
		.amdhsa_float_round_mode_16_64 0
		.amdhsa_float_denorm_mode_32 3
		.amdhsa_float_denorm_mode_16_64 3
		.amdhsa_dx10_clamp 1
		.amdhsa_ieee_mode 1
		.amdhsa_fp16_overflow 0
		.amdhsa_tg_split 0
		.amdhsa_exception_fp_ieee_invalid_op 0
		.amdhsa_exception_fp_denorm_src 0
		.amdhsa_exception_fp_ieee_div_zero 0
		.amdhsa_exception_fp_ieee_overflow 0
		.amdhsa_exception_fp_ieee_underflow 0
		.amdhsa_exception_fp_ieee_inexact 0
		.amdhsa_exception_int_div_zero 0
	.end_amdhsa_kernel
	.section	.text._ZN9rocsolver6v33100L22larf_left_kernel_smallILi512EflPKPfEEvT1_S5_T2_lS5_lPKT0_lS6_lS5_l,"axG",@progbits,_ZN9rocsolver6v33100L22larf_left_kernel_smallILi512EflPKPfEEvT1_S5_T2_lS5_lPKT0_lS6_lS5_l,comdat
.Lfunc_end33:
	.size	_ZN9rocsolver6v33100L22larf_left_kernel_smallILi512EflPKPfEEvT1_S5_T2_lS5_lPKT0_lS6_lS5_l, .Lfunc_end33-_ZN9rocsolver6v33100L22larf_left_kernel_smallILi512EflPKPfEEvT1_S5_T2_lS5_lPKT0_lS6_lS5_l
                                        ; -- End function
	.set _ZN9rocsolver6v33100L22larf_left_kernel_smallILi512EflPKPfEEvT1_S5_T2_lS5_lPKT0_lS6_lS5_l.num_vgpr, 44
	.set _ZN9rocsolver6v33100L22larf_left_kernel_smallILi512EflPKPfEEvT1_S5_T2_lS5_lPKT0_lS6_lS5_l.num_agpr, 0
	.set _ZN9rocsolver6v33100L22larf_left_kernel_smallILi512EflPKPfEEvT1_S5_T2_lS5_lPKT0_lS6_lS5_l.numbered_sgpr, 50
	.set _ZN9rocsolver6v33100L22larf_left_kernel_smallILi512EflPKPfEEvT1_S5_T2_lS5_lPKT0_lS6_lS5_l.num_named_barrier, 0
	.set _ZN9rocsolver6v33100L22larf_left_kernel_smallILi512EflPKPfEEvT1_S5_T2_lS5_lPKT0_lS6_lS5_l.private_seg_size, 0
	.set _ZN9rocsolver6v33100L22larf_left_kernel_smallILi512EflPKPfEEvT1_S5_T2_lS5_lPKT0_lS6_lS5_l.uses_vcc, 1
	.set _ZN9rocsolver6v33100L22larf_left_kernel_smallILi512EflPKPfEEvT1_S5_T2_lS5_lPKT0_lS6_lS5_l.uses_flat_scratch, 0
	.set _ZN9rocsolver6v33100L22larf_left_kernel_smallILi512EflPKPfEEvT1_S5_T2_lS5_lPKT0_lS6_lS5_l.has_dyn_sized_stack, 0
	.set _ZN9rocsolver6v33100L22larf_left_kernel_smallILi512EflPKPfEEvT1_S5_T2_lS5_lPKT0_lS6_lS5_l.has_recursion, 0
	.set _ZN9rocsolver6v33100L22larf_left_kernel_smallILi512EflPKPfEEvT1_S5_T2_lS5_lPKT0_lS6_lS5_l.has_indirect_call, 0
	.section	.AMDGPU.csdata,"",@progbits
; Kernel info:
; codeLenInByte = 2040
; TotalNumSgprs: 56
; NumVgprs: 44
; NumAgprs: 0
; TotalNumVgprs: 44
; ScratchSize: 0
; MemoryBound: 0
; FloatMode: 240
; IeeeMode: 1
; LDSByteSize: 10240 bytes/workgroup (compile time only)
; SGPRBlocks: 6
; VGPRBlocks: 5
; NumSGPRsForWavesPerEU: 56
; NumVGPRsForWavesPerEU: 44
; AccumOffset: 44
; Occupancy: 8
; WaveLimiterHint : 1
; COMPUTE_PGM_RSRC2:SCRATCH_EN: 0
; COMPUTE_PGM_RSRC2:USER_SGPR: 2
; COMPUTE_PGM_RSRC2:TRAP_HANDLER: 0
; COMPUTE_PGM_RSRC2:TGID_X_EN: 1
; COMPUTE_PGM_RSRC2:TGID_Y_EN: 1
; COMPUTE_PGM_RSRC2:TGID_Z_EN: 0
; COMPUTE_PGM_RSRC2:TIDIG_COMP_CNT: 0
; COMPUTE_PGM_RSRC3_GFX90A:ACCUM_OFFSET: 10
; COMPUTE_PGM_RSRC3_GFX90A:TG_SPLIT: 0
	.section	.text._ZN9rocsolver6v33100L22larf_left_kernel_smallILi1024EflPKPfEEvT1_S5_T2_lS5_lPKT0_lS6_lS5_l,"axG",@progbits,_ZN9rocsolver6v33100L22larf_left_kernel_smallILi1024EflPKPfEEvT1_S5_T2_lS5_lPKT0_lS6_lS5_l,comdat
	.globl	_ZN9rocsolver6v33100L22larf_left_kernel_smallILi1024EflPKPfEEvT1_S5_T2_lS5_lPKT0_lS6_lS5_l ; -- Begin function _ZN9rocsolver6v33100L22larf_left_kernel_smallILi1024EflPKPfEEvT1_S5_T2_lS5_lPKT0_lS6_lS5_l
	.p2align	8
	.type	_ZN9rocsolver6v33100L22larf_left_kernel_smallILi1024EflPKPfEEvT1_S5_T2_lS5_lPKT0_lS6_lS5_l,@function
_ZN9rocsolver6v33100L22larf_left_kernel_smallILi1024EflPKPfEEvT1_S5_T2_lS5_lPKT0_lS6_lS5_l: ; @_ZN9rocsolver6v33100L22larf_left_kernel_smallILi1024EflPKPfEEvT1_S5_T2_lS5_lPKT0_lS6_lS5_l
; %bb.0:
	s_load_dwordx8 s[16:23], s[0:1], 0x0
	s_load_dwordx2 s[4:5], s[0:1], 0x20
	s_load_dwordx8 s[8:15], s[0:1], 0x30
	s_mov_b32 s24, s3
	s_mov_b32 s3, 0
	s_lshl_b64 s[6:7], s[2:3], 3
	s_waitcnt lgkmcnt(0)
	s_add_u32 s26, s20, s6
	s_addc_u32 s27, s21, s7
	s_add_u32 s6, s12, s6
	s_addc_u32 s7, s13, s7
	v_cmp_gt_i64_e64 s[12:13], s[4:5], 0
	s_mov_b64 s[20:21], 0
	s_and_b64 vcc, exec, s[12:13]
	s_cbranch_vccnz .LBB34_2
; %bb.1:
	s_sub_u32 s3, 1, s16
	s_subb_u32 s12, 0, s17
	s_mul_i32 s12, s4, s12
	s_mul_hi_u32 s13, s4, s3
	s_add_i32 s12, s13, s12
	s_mul_i32 s13, s5, s3
	s_add_i32 s21, s12, s13
	s_mul_i32 s20, s4, s3
.LBB34_2:
	s_load_dwordx2 s[28:29], s[6:7], 0x0
	v_mov_b32_e32 v1, 0
	v_cmp_gt_i64_e64 s[12:13], s[16:17], v[0:1]
	v_not_b32_e32 v6, v0
	s_and_saveexec_b64 s[6:7], s[12:13]
	s_cbranch_execz .LBB34_10
; %bb.3:
	s_load_dwordx2 s[26:27], s[26:27], 0x0
	v_mov_b32_e32 v7, -1
	v_lshl_add_u64 v[4:5], s[16:17], 0, v[6:7]
	s_mov_b64 s[30:31], 0x3ff
	v_cmp_lt_u64_e32 vcc, s[30:31], v[4:5]
	s_mov_b64 s[34:35], -1
	v_mov_b64_e32 v[2:3], v[0:1]
	s_and_saveexec_b64 s[30:31], vcc
	s_cbranch_execz .LBB34_7
; %bb.4:
	s_lshl_b64 s[34:35], s[22:23], 2
	s_waitcnt lgkmcnt(0)
	s_add_u32 s3, s26, s34
	v_lshrrev_b64 v[2:3], 10, v[4:5]
	s_addc_u32 s25, s27, s35
	s_lshl_b64 s[34:35], s[20:21], 2
	v_lshl_add_u64 v[8:9], v[2:3], 0, 1
	v_or_b32_e32 v2, 0x400, v0
	v_mov_b32_e32 v3, v1
	s_add_u32 s34, s3, s34
	v_and_b32_e32 v10, -2, v8
	v_mov_b32_e32 v11, v9
	v_mov_b64_e32 v[4:5], v[2:3]
	s_addc_u32 s35, s25, s35
	s_mov_b32 s3, s4
	s_mov_b32 s25, s5
	s_mov_b64 s[36:37], 0
	s_mov_b64 s[38:39], 0x800
	v_mov_b64_e32 v[12:13], v[10:11]
	v_mov_b64_e32 v[2:3], v[0:1]
.LBB34_5:                               ; =>This Inner Loop Header: Depth=1
	v_mul_lo_u32 v19, v3, s4
	v_mul_lo_u32 v20, v2, s5
	v_mad_u64_u32 v[16:17], s[40:41], v2, s4, 0
	v_mul_lo_u32 v7, v5, s3
	v_mul_lo_u32 v18, v4, s25
	v_mad_u64_u32 v[14:15], s[40:41], v4, s3, 0
	v_add3_u32 v17, v17, v20, v19
	v_add3_u32 v15, v15, v18, v7
	v_lshl_add_u64 v[16:17], v[16:17], 2, s[34:35]
	v_lshl_add_u64 v[14:15], v[14:15], 2, s[34:35]
	flat_load_dword v7, v[16:17]
	flat_load_dword v18, v[14:15]
	v_lshl_add_u64 v[12:13], v[12:13], 0, -2
	v_cmp_eq_u64_e32 vcc, 0, v[12:13]
	v_lshlrev_b32_e32 v14, 2, v2
	v_lshlrev_b32_e32 v15, 2, v4
	v_lshl_add_u64 v[4:5], v[4:5], 0, s[38:39]
	v_lshl_add_u64 v[2:3], v[2:3], 0, s[38:39]
	s_or_b64 s[36:37], vcc, s[36:37]
	s_waitcnt vmcnt(0) lgkmcnt(0)
	ds_write_b32 v14, v7
	ds_write_b32 v15, v18
	s_andn2_b64 exec, exec, s[36:37]
	s_cbranch_execnz .LBB34_5
; %bb.6:
	s_or_b64 exec, exec, s[36:37]
	v_lshlrev_b64 v[2:3], 10, v[10:11]
	v_cmp_ne_u64_e32 vcc, v[8:9], v[10:11]
	v_or_b32_e32 v2, v2, v0
	s_orn2_b64 s[34:35], vcc, exec
.LBB34_7:
	s_or_b64 exec, exec, s[30:31]
	s_and_b64 exec, exec, s[34:35]
	s_cbranch_execz .LBB34_10
; %bb.8:
	s_lshl_b64 s[20:21], s[20:21], 2
	s_lshl_b64 s[22:23], s[22:23], 2
	s_waitcnt lgkmcnt(0)
	s_add_u32 s3, s26, s22
	s_addc_u32 s22, s27, s23
	v_mul_lo_u32 v7, v3, s4
	v_mul_lo_u32 v8, v2, s5
	v_mad_u64_u32 v[4:5], s[30:31], v2, s4, 0
	s_add_u32 s20, s3, s20
	v_add3_u32 v5, v5, v8, v7
	s_addc_u32 s21, s22, s21
	v_lshl_add_u64 v[4:5], v[4:5], 2, s[20:21]
	s_lshl_b64 s[4:5], s[4:5], 12
	v_lshlrev_b32_e32 v7, 2, v2
	s_mov_b64 s[20:21], 0
	s_mov_b64 s[22:23], 0x400
.LBB34_9:                               ; =>This Inner Loop Header: Depth=1
	flat_load_dword v8, v[4:5]
	v_lshl_add_u64 v[2:3], v[2:3], 0, s[22:23]
	v_cmp_le_i64_e32 vcc, s[16:17], v[2:3]
	v_lshl_add_u64 v[4:5], v[4:5], 0, s[4:5]
	s_or_b64 s[20:21], vcc, s[20:21]
	s_waitcnt vmcnt(0) lgkmcnt(0)
	ds_write_b32 v7, v8
	v_add_u32_e32 v7, 0x1000, v7
	s_andn2_b64 exec, exec, s[20:21]
	s_cbranch_execnz .LBB34_9
.LBB34_10:
	s_or_b64 exec, exec, s[6:7]
	s_mov_b32 s25, 0
	v_mov_b64_e32 v[2:3], s[24:25]
	v_cmp_le_i64_e32 vcc, s[18:19], v[2:3]
	s_waitcnt lgkmcnt(0)
	s_barrier
	s_cbranch_vccnz .LBB34_39
; %bb.11:
	s_load_dwordx2 s[22:23], s[0:1], 0x50
	s_mul_i32 s0, s11, s2
	s_mul_hi_u32 s1, s10, s2
	s_add_i32 s1, s1, s0
	s_mul_i32 s0, s10, s2
	s_lshl_b64 s[0:1], s[0:1], 2
	s_add_u32 s0, s8, s0
	s_addc_u32 s1, s9, s1
	s_cmp_gt_i32 s16, 1
	s_waitcnt lgkmcnt(0)
	s_mul_i32 s8, s23, s24
	s_mul_hi_u32 s9, s22, s24
	s_cselect_b64 s[20:21], -1, 0
	v_and_b32_e32 v2, 63, v0
	v_mov_b32_e32 v7, -1
	s_add_i32 s31, s9, s8
	s_mul_i32 s30, s22, s24
	v_cmp_eq_u32_e64 s[4:5], 0, v2
	v_lshl_add_u64 v[2:3], s[16:17], 0, v[6:7]
	s_add_u32 s8, s30, s14
	s_addc_u32 s9, s31, s15
	s_lshl_b64 s[22:23], s[22:23], 8
	v_lshrrev_b64 v[6:7], 10, v[2:3]
	s_lshl_b64 s[30:31], s[30:31], 2
	s_lshl_b64 s[14:15], s[14:15], 2
	v_lshl_add_u64 v[6:7], v[6:7], 0, 1
	s_add_u32 s14, s30, s14
	v_lshl_add_u64 v[4:5], s[8:9], 0, v[0:1]
	s_mov_b32 s10, -1
	v_and_b32_e32 v12, -2, v6
	v_mov_b32_e32 v13, v7
	s_addc_u32 s15, s31, s15
	v_lshl_add_u64 v[8:9], v[4:5], 2, s[28:29]
	s_mov_b64 s[8:9], 0xc00
	s_brev_b32 s11, -4
	v_lshlrev_b64 v[14:15], 10, v[12:13]
	s_add_u32 s14, s28, s14
	v_mbcnt_lo_u32_b32 v4, -1, 0
	v_cmp_gt_u64_e64 s[26:27], s[8:9], v[2:3]
	s_mov_b64 s[8:9], 0xbff
	v_lshlrev_b64 v[10:11], 2, v[2:3]
	v_cmp_lt_u64_e32 vcc, s[10:11], v[2:3]
	v_or_b32_e32 v14, v14, v0
	v_lshlrev_b32_e32 v16, 2, v0
	v_mov_b32_e32 v17, 0
	s_addc_u32 s15, s29, s15
	v_mbcnt_hi_u32_b32 v39, -1, v4
	v_mov_b32_e32 v4, 0x80
	v_cmp_gt_i32_e64 s[2:3], s16, v0
	v_lshrrev_b32_e32 v30, 4, v0
	v_cmp_eq_u32_e64 s[6:7], 0, v0
	v_cmp_lt_u64_e64 s[8:9], s[8:9], v[2:3]
	v_and_b32_e32 v10, 0xfffff000, v10
	v_or_b32_e32 v2, 0x400, v0
	v_mov_b32_e32 v3, v1
	v_cmp_ne_u64_e64 s[10:11], v[6:7], v[12:13]
	v_lshlrev_b32_e32 v31, 2, v0
	v_lshl_add_u64 v[18:19], s[14:15], 0, v[16:17]
	s_mov_b64 s[28:29], 0
	s_mov_b64 s[30:31], 0x1000
	v_mov_b32_e32 v32, 0x2004
	v_mov_b32_e32 v33, 0x200c
	v_mov_b32_e32 v34, 0x2014
	v_mov_b32_e32 v35, 0x201c
	v_mov_b32_e32 v36, 0x2024
	v_mov_b32_e32 v37, 0x202c
	v_mov_b32_e32 v38, 0x2034
	s_mov_b64 s[34:35], 0x800
	s_mov_b64 s[36:37], 0x2000
	v_lshlrev_b64 v[20:21], 2, v[14:15]
	s_mov_b64 s[38:39], 0x400
	v_and_b32_e32 v40, 63, v39
	v_lshl_or_b32 v41, v39, 2, v4
	s_xor_b64 s[40:41], vcc, -1
	v_mov_b64_e32 v[22:23], s[18:19]
	s_branch .LBB34_13
.LBB34_12:                              ;   in Loop: Header=BB34_13 Depth=1
	s_or_b64 exec, exec, s[18:19]
	s_add_u32 s24, s24, 64
	s_addc_u32 s25, s25, 0
	s_add_u32 s28, s28, 1
	s_addc_u32 s29, s29, 0
	s_add_u32 s14, s14, s22
	v_cmp_ge_i64_e32 vcc, s[24:25], v[22:23]
	v_lshl_add_u64 v[18:19], v[18:19], 0, s[22:23]
	s_addc_u32 s15, s15, s23
	s_cbranch_vccnz .LBB34_39
.LBB34_13:                              ; =>This Loop Header: Depth=1
                                        ;     Child Loop BB34_15 Depth 2
                                        ;     Child Loop BB34_31 Depth 2
                                        ;     Child Loop BB34_38 Depth 2
	v_mov_b32_e32 v6, 0
	s_and_saveexec_b64 s[18:19], s[2:3]
	s_cbranch_execz .LBB34_17
; %bb.14:                               ;   in Loop: Header=BB34_13 Depth=1
	v_mov_b32_e32 v6, 0
	s_mov_b64 s[42:43], 0
	v_mov_b64_e32 v[4:5], v[18:19]
	v_mov_b32_e32 v7, v31
	v_mov_b32_e32 v24, v0
.LBB34_15:                              ;   Parent Loop BB34_13 Depth=1
                                        ; =>  This Inner Loop Header: Depth=2
	flat_load_dword v25, v[4:5]
	ds_read_b32 v26, v7
	v_add_u32_e32 v24, 0x400, v24
	v_cmp_le_i32_e32 vcc, s16, v24
	v_add_u32_e32 v7, 0x1000, v7
	v_lshl_add_u64 v[4:5], v[4:5], 0, s[30:31]
	s_or_b64 s[42:43], vcc, s[42:43]
	s_waitcnt vmcnt(0) lgkmcnt(0)
	v_fmac_f32_e32 v6, v26, v25
	s_andn2_b64 exec, exec, s[42:43]
	s_cbranch_execnz .LBB34_15
; %bb.16:                               ;   in Loop: Header=BB34_13 Depth=1
	s_or_b64 exec, exec, s[42:43]
.LBB34_17:                              ;   in Loop: Header=BB34_13 Depth=1
	s_or_b64 exec, exec, s[18:19]
	s_and_b64 vcc, exec, s[20:21]
	s_cbranch_vccz .LBB34_24
; %bb.18:                               ;   in Loop: Header=BB34_13 Depth=1
	v_cmp_ne_u32_e32 vcc, 63, v40
	s_nop 1
	v_addc_co_u32_e32 v4, vcc, 0, v39, vcc
	v_lshlrev_b32_e32 v4, 2, v4
	ds_bpermute_b32 v4, v4, v6
	v_cmp_gt_u32_e32 vcc, 62, v40
	s_waitcnt lgkmcnt(0)
	v_add_f32_e32 v4, v6, v4
	v_cndmask_b32_e64 v5, 0, 2, vcc
	v_add_lshl_u32 v5, v5, v39, 2
	ds_bpermute_b32 v5, v5, v4
	v_cmp_gt_u32_e32 vcc, 60, v40
	s_waitcnt lgkmcnt(0)
	v_add_f32_e32 v4, v4, v5
	v_cndmask_b32_e64 v7, 0, 4, vcc
	v_add_lshl_u32 v7, v7, v39, 2
	;; [unrolled: 6-line block ×4, first 2 shown]
	ds_bpermute_b32 v5, v5, v4
	s_waitcnt lgkmcnt(0)
	v_add_f32_e32 v4, v4, v5
	ds_bpermute_b32 v5, v41, v4
	s_waitcnt lgkmcnt(0)
	v_add_f32_e32 v4, v4, v5
	s_and_saveexec_b64 s[18:19], s[4:5]
; %bb.19:                               ;   in Loop: Header=BB34_13 Depth=1
	ds_write_b32 v30, v4 offset:8192
; %bb.20:                               ;   in Loop: Header=BB34_13 Depth=1
	s_or_b64 exec, exec, s[18:19]
	s_mov_b64 s[42:43], 0
	s_mov_b64 s[18:19], 0
	s_waitcnt lgkmcnt(0)
	s_barrier
                                        ; implicit-def: $vgpr5
	s_and_saveexec_b64 s[44:45], s[6:7]
	s_xor_b64 s[44:45], exec, s[44:45]
	s_cbranch_execz .LBB34_22
; %bb.21:                               ;   in Loop: Header=BB34_13 Depth=1
	ds_read2_b32 v[24:25], v32 offset1:1
	ds_read2_b32 v[26:27], v33 offset1:1
	;; [unrolled: 1-line block ×4, first 2 shown]
	s_mov_b64 s[18:19], exec
	s_waitcnt lgkmcnt(0)
	v_add_f32_e32 v4, v4, v24
	v_add_f32_e32 v4, v4, v25
	s_waitcnt lgkmcnt(2)
	v_add_f32_e32 v4, v4, v26
	v_add_f32_e32 v4, v4, v27
	s_waitcnt lgkmcnt(1)
	v_add_f32_e32 v4, v4, v28
	v_add_f32_e32 v4, v4, v29
	s_waitcnt lgkmcnt(0)
	v_add_f32_e32 v7, v4, v42
	ds_read2_b32 v[4:5], v36 offset1:1
	v_add_f32_e32 v7, v7, v43
	ds_read2_b32 v[24:25], v37 offset1:1
	ds_read2_b32 v[26:27], v38 offset1:1
	ds_read_b32 v28, v17 offset:8252
	s_waitcnt lgkmcnt(0)
	v_add_f32_e32 v4, v7, v4
	v_add_f32_e32 v4, v4, v5
	s_waitcnt lgkmcnt(2)
	v_add_f32_e32 v4, v4, v24
	v_add_f32_e32 v4, v4, v25
	;; [unrolled: 3-line block ×3, first 2 shown]
	s_waitcnt lgkmcnt(0)
	v_add_f32_e32 v5, v4, v28
.LBB34_22:                              ;   in Loop: Header=BB34_13 Depth=1
	s_or_b64 exec, exec, s[44:45]
	s_and_b64 vcc, exec, s[42:43]
	s_cbranch_vccnz .LBB34_25
.LBB34_23:                              ;   in Loop: Header=BB34_13 Depth=1
	v_mov_b32_e32 v6, v5
	s_and_saveexec_b64 s[42:43], s[18:19]
	s_cbranch_execnz .LBB34_26
	s_branch .LBB34_27
.LBB34_24:                              ;   in Loop: Header=BB34_13 Depth=1
	s_mov_b64 s[18:19], 0
                                        ; implicit-def: $vgpr5
	s_cbranch_execz .LBB34_23
.LBB34_25:                              ;   in Loop: Header=BB34_13 Depth=1
	s_andn2_b64 s[18:19], s[18:19], exec
	s_and_b64 s[42:43], s[6:7], exec
	s_or_b64 s[18:19], s[18:19], s[42:43]
	s_and_saveexec_b64 s[42:43], s[18:19]
.LBB34_26:                              ;   in Loop: Header=BB34_13 Depth=1
	ds_write_b32 v17, v6 offset:8192
.LBB34_27:                              ;   in Loop: Header=BB34_13 Depth=1
	s_or_b64 exec, exec, s[42:43]
	s_waitcnt lgkmcnt(0)
	s_barrier
	s_and_saveexec_b64 s[18:19], s[12:13]
	s_cbranch_execz .LBB34_12
; %bb.28:                               ;   in Loop: Header=BB34_13 Depth=1
	global_load_dword v6, v17, s[0:1]
	ds_read_b32 v7, v17 offset:8192
	s_mov_b64 s[44:45], s[26:27]
	v_mov_b64_e32 v[4:5], v[0:1]
	s_waitcnt vmcnt(0) lgkmcnt(0)
	v_mul_f32_e64 v24, v7, -v6
	v_mov_b64_e32 v[6:7], v[16:17]
	s_and_saveexec_b64 s[42:43], s[8:9]
	s_cbranch_execz .LBB34_36
; %bb.29:                               ;   in Loop: Header=BB34_13 Depth=1
	s_mul_i32 s33, s23, s28
	s_mul_i32 s44, s22, s29
	v_mov_b32_e32 v4, s28
	s_add_i32 s33, s44, s33
	v_mad_u64_u32 v[4:5], s[44:45], s22, v4, v[8:9]
	v_add_u32_e32 v5, s33, v5
	v_lshl_add_u64 v[6:7], v[4:5], 0, v[10:11]
	v_cmp_ge_u64_e32 vcc, v[6:7], v[4:5]
	s_mov_b64 s[46:47], -1
	s_and_b64 s[48:49], vcc, s[40:41]
	v_mov_b64_e32 v[4:5], v[0:1]
	v_mov_b64_e32 v[6:7], v[16:17]
	s_and_saveexec_b64 s[44:45], s[48:49]
	s_cbranch_execz .LBB34_35
; %bb.30:                               ;   in Loop: Header=BB34_13 Depth=1
	v_mov_b64_e32 v[6:7], v[2:3]
	v_mov_b32_e32 v25, v24
	s_mov_b64 s[46:47], 0
	v_mov_b64_e32 v[26:27], v[12:13]
	v_mov_b64_e32 v[28:29], v[18:19]
	v_mov_b64_e32 v[4:5], v[0:1]
.LBB34_31:                              ;   Parent Loop BB34_13 Depth=1
                                        ; =>  This Inner Loop Header: Depth=2
	v_add_co_u32_e32 v42, vcc, 0x1000, v28
	v_lshlrev_b32_e32 v46, 2, v4
	s_nop 0
	v_addc_co_u32_e32 v43, vcc, 0, v29, vcc
	flat_load_dword v44, v[28:29]
	flat_load_dword v45, v[42:43]
	v_lshlrev_b32_e32 v47, 2, v6
	ds_read_b32 v46, v46
	ds_read_b32 v47, v47
	v_lshl_add_u64 v[26:27], v[26:27], 0, -2
	v_cmp_eq_u64_e32 vcc, 0, v[26:27]
	v_lshl_add_u64 v[6:7], v[6:7], 0, s[34:35]
	v_lshl_add_u64 v[4:5], v[4:5], 0, s[34:35]
	s_or_b64 s[46:47], vcc, s[46:47]
	s_waitcnt vmcnt(0) lgkmcnt(0)
	v_pk_fma_f32 v[44:45], v[24:25], v[46:47], v[44:45]
	flat_store_dword v[28:29], v44
	flat_store_dword v[42:43], v45
	v_lshl_add_u64 v[28:29], v[28:29], 0, s[36:37]
	s_andn2_b64 exec, exec, s[46:47]
	s_cbranch_execnz .LBB34_31
; %bb.32:                               ;   in Loop: Header=BB34_13 Depth=1
	s_or_b64 exec, exec, s[46:47]
	s_mov_b64 s[46:47], 0
	s_and_saveexec_b64 s[48:49], s[10:11]
; %bb.33:                               ;   in Loop: Header=BB34_13 Depth=1
	s_mov_b64 s[46:47], exec
; %bb.34:                               ;   in Loop: Header=BB34_13 Depth=1
	s_or_b64 exec, exec, s[48:49]
	s_orn2_b64 s[46:47], s[46:47], exec
	v_mov_b64_e32 v[4:5], v[14:15]
	v_mov_b64_e32 v[6:7], v[20:21]
.LBB34_35:                              ;   in Loop: Header=BB34_13 Depth=1
	s_or_b64 exec, exec, s[44:45]
	s_andn2_b64 s[44:45], s[26:27], exec
	s_and_b64 s[46:47], s[46:47], exec
	s_or_b64 s[44:45], s[44:45], s[46:47]
.LBB34_36:                              ;   in Loop: Header=BB34_13 Depth=1
	s_or_b64 exec, exec, s[42:43]
	s_and_b64 exec, exec, s[44:45]
	s_cbranch_execz .LBB34_12
; %bb.37:                               ;   in Loop: Header=BB34_13 Depth=1
	v_lshlrev_b32_e32 v25, 2, v4
	v_lshl_add_u64 v[6:7], s[14:15], 0, v[6:7]
	s_mov_b64 s[42:43], 0
.LBB34_38:                              ;   Parent Loop BB34_13 Depth=1
                                        ; =>  This Inner Loop Header: Depth=2
	flat_load_dword v26, v[6:7]
	ds_read_b32 v27, v25
	v_lshl_add_u64 v[4:5], v[4:5], 0, s[38:39]
	v_cmp_le_i64_e32 vcc, s[16:17], v[4:5]
	v_add_u32_e32 v25, 0x1000, v25
	s_or_b64 s[42:43], vcc, s[42:43]
	s_waitcnt vmcnt(0) lgkmcnt(0)
	v_fmac_f32_e32 v26, v24, v27
	flat_store_dword v[6:7], v26
	v_lshl_add_u64 v[6:7], v[6:7], 0, s[30:31]
	s_andn2_b64 exec, exec, s[42:43]
	s_cbranch_execnz .LBB34_38
	s_branch .LBB34_12
.LBB34_39:
	s_endpgm
	.section	.rodata,"a",@progbits
	.p2align	6, 0x0
	.amdhsa_kernel _ZN9rocsolver6v33100L22larf_left_kernel_smallILi1024EflPKPfEEvT1_S5_T2_lS5_lPKT0_lS6_lS5_l
		.amdhsa_group_segment_fixed_size 12288
		.amdhsa_private_segment_fixed_size 0
		.amdhsa_kernarg_size 96
		.amdhsa_user_sgpr_count 2
		.amdhsa_user_sgpr_dispatch_ptr 0
		.amdhsa_user_sgpr_queue_ptr 0
		.amdhsa_user_sgpr_kernarg_segment_ptr 1
		.amdhsa_user_sgpr_dispatch_id 0
		.amdhsa_user_sgpr_kernarg_preload_length 0
		.amdhsa_user_sgpr_kernarg_preload_offset 0
		.amdhsa_user_sgpr_private_segment_size 0
		.amdhsa_uses_dynamic_stack 0
		.amdhsa_enable_private_segment 0
		.amdhsa_system_sgpr_workgroup_id_x 1
		.amdhsa_system_sgpr_workgroup_id_y 1
		.amdhsa_system_sgpr_workgroup_id_z 0
		.amdhsa_system_sgpr_workgroup_info 0
		.amdhsa_system_vgpr_workitem_id 0
		.amdhsa_next_free_vgpr 48
		.amdhsa_next_free_sgpr 50
		.amdhsa_accum_offset 48
		.amdhsa_reserve_vcc 1
		.amdhsa_float_round_mode_32 0
		.amdhsa_float_round_mode_16_64 0
		.amdhsa_float_denorm_mode_32 3
		.amdhsa_float_denorm_mode_16_64 3
		.amdhsa_dx10_clamp 1
		.amdhsa_ieee_mode 1
		.amdhsa_fp16_overflow 0
		.amdhsa_tg_split 0
		.amdhsa_exception_fp_ieee_invalid_op 0
		.amdhsa_exception_fp_denorm_src 0
		.amdhsa_exception_fp_ieee_div_zero 0
		.amdhsa_exception_fp_ieee_overflow 0
		.amdhsa_exception_fp_ieee_underflow 0
		.amdhsa_exception_fp_ieee_inexact 0
		.amdhsa_exception_int_div_zero 0
	.end_amdhsa_kernel
	.section	.text._ZN9rocsolver6v33100L22larf_left_kernel_smallILi1024EflPKPfEEvT1_S5_T2_lS5_lPKT0_lS6_lS5_l,"axG",@progbits,_ZN9rocsolver6v33100L22larf_left_kernel_smallILi1024EflPKPfEEvT1_S5_T2_lS5_lPKT0_lS6_lS5_l,comdat
.Lfunc_end34:
	.size	_ZN9rocsolver6v33100L22larf_left_kernel_smallILi1024EflPKPfEEvT1_S5_T2_lS5_lPKT0_lS6_lS5_l, .Lfunc_end34-_ZN9rocsolver6v33100L22larf_left_kernel_smallILi1024EflPKPfEEvT1_S5_T2_lS5_lPKT0_lS6_lS5_l
                                        ; -- End function
	.set _ZN9rocsolver6v33100L22larf_left_kernel_smallILi1024EflPKPfEEvT1_S5_T2_lS5_lPKT0_lS6_lS5_l.num_vgpr, 48
	.set _ZN9rocsolver6v33100L22larf_left_kernel_smallILi1024EflPKPfEEvT1_S5_T2_lS5_lPKT0_lS6_lS5_l.num_agpr, 0
	.set _ZN9rocsolver6v33100L22larf_left_kernel_smallILi1024EflPKPfEEvT1_S5_T2_lS5_lPKT0_lS6_lS5_l.numbered_sgpr, 50
	.set _ZN9rocsolver6v33100L22larf_left_kernel_smallILi1024EflPKPfEEvT1_S5_T2_lS5_lPKT0_lS6_lS5_l.num_named_barrier, 0
	.set _ZN9rocsolver6v33100L22larf_left_kernel_smallILi1024EflPKPfEEvT1_S5_T2_lS5_lPKT0_lS6_lS5_l.private_seg_size, 0
	.set _ZN9rocsolver6v33100L22larf_left_kernel_smallILi1024EflPKPfEEvT1_S5_T2_lS5_lPKT0_lS6_lS5_l.uses_vcc, 1
	.set _ZN9rocsolver6v33100L22larf_left_kernel_smallILi1024EflPKPfEEvT1_S5_T2_lS5_lPKT0_lS6_lS5_l.uses_flat_scratch, 0
	.set _ZN9rocsolver6v33100L22larf_left_kernel_smallILi1024EflPKPfEEvT1_S5_T2_lS5_lPKT0_lS6_lS5_l.has_dyn_sized_stack, 0
	.set _ZN9rocsolver6v33100L22larf_left_kernel_smallILi1024EflPKPfEEvT1_S5_T2_lS5_lPKT0_lS6_lS5_l.has_recursion, 0
	.set _ZN9rocsolver6v33100L22larf_left_kernel_smallILi1024EflPKPfEEvT1_S5_T2_lS5_lPKT0_lS6_lS5_l.has_indirect_call, 0
	.section	.AMDGPU.csdata,"",@progbits
; Kernel info:
; codeLenInByte = 2160
; TotalNumSgprs: 56
; NumVgprs: 48
; NumAgprs: 0
; TotalNumVgprs: 48
; ScratchSize: 0
; MemoryBound: 0
; FloatMode: 240
; IeeeMode: 1
; LDSByteSize: 12288 bytes/workgroup (compile time only)
; SGPRBlocks: 6
; VGPRBlocks: 5
; NumSGPRsForWavesPerEU: 56
; NumVGPRsForWavesPerEU: 48
; AccumOffset: 48
; Occupancy: 8
; WaveLimiterHint : 1
; COMPUTE_PGM_RSRC2:SCRATCH_EN: 0
; COMPUTE_PGM_RSRC2:USER_SGPR: 2
; COMPUTE_PGM_RSRC2:TRAP_HANDLER: 0
; COMPUTE_PGM_RSRC2:TGID_X_EN: 1
; COMPUTE_PGM_RSRC2:TGID_Y_EN: 1
; COMPUTE_PGM_RSRC2:TGID_Z_EN: 0
; COMPUTE_PGM_RSRC2:TIDIG_COMP_CNT: 0
; COMPUTE_PGM_RSRC3_GFX90A:ACCUM_OFFSET: 11
; COMPUTE_PGM_RSRC3_GFX90A:TG_SPLIT: 0
	.section	.text._ZN9rocsolver6v33100L23larf_right_kernel_smallILi64EflPKPfEEvT1_S5_T2_lS5_lPKT0_lS6_lS5_l,"axG",@progbits,_ZN9rocsolver6v33100L23larf_right_kernel_smallILi64EflPKPfEEvT1_S5_T2_lS5_lPKT0_lS6_lS5_l,comdat
	.globl	_ZN9rocsolver6v33100L23larf_right_kernel_smallILi64EflPKPfEEvT1_S5_T2_lS5_lPKT0_lS6_lS5_l ; -- Begin function _ZN9rocsolver6v33100L23larf_right_kernel_smallILi64EflPKPfEEvT1_S5_T2_lS5_lPKT0_lS6_lS5_l
	.p2align	8
	.type	_ZN9rocsolver6v33100L23larf_right_kernel_smallILi64EflPKPfEEvT1_S5_T2_lS5_lPKT0_lS6_lS5_l,@function
_ZN9rocsolver6v33100L23larf_right_kernel_smallILi64EflPKPfEEvT1_S5_T2_lS5_lPKT0_lS6_lS5_l: ; @_ZN9rocsolver6v33100L23larf_right_kernel_smallILi64EflPKPfEEvT1_S5_T2_lS5_lPKT0_lS6_lS5_l
; %bb.0:
	s_load_dwordx8 s[8:15], s[0:1], 0x0
	s_load_dwordx2 s[24:25], s[0:1], 0x20
	s_load_dwordx8 s[16:23], s[0:1], 0x30
	s_mov_b32 s6, s3
	s_mov_b32 s3, 0
	s_lshl_b64 s[4:5], s[2:3], 3
	s_waitcnt lgkmcnt(0)
	s_add_u32 s28, s12, s4
	s_addc_u32 s29, s13, s5
	s_add_u32 s4, s20, s4
	v_cmp_gt_i64_e64 s[12:13], s[24:25], 0
	s_addc_u32 s5, s21, s5
	s_mov_b64 s[26:27], 0
	s_and_b64 vcc, exec, s[12:13]
	s_cbranch_vccnz .LBB35_2
; %bb.1:
	s_sub_u32 s3, 1, s10
	s_subb_u32 s7, 0, s11
	s_mul_i32 s7, s24, s7
	s_mul_hi_u32 s12, s24, s3
	s_add_i32 s7, s12, s7
	s_mul_i32 s12, s25, s3
	s_add_i32 s27, s7, s12
	s_mul_i32 s26, s24, s3
.LBB35_2:
	s_load_dwordx2 s[20:21], s[4:5], 0x0
	v_mov_b32_e32 v1, 0
	v_cmp_gt_i64_e64 s[4:5], s[10:11], v[0:1]
	s_and_saveexec_b64 s[12:13], s[4:5]
	s_cbranch_execz .LBB35_10
; %bb.3:
	s_load_dwordx2 s[28:29], s[28:29], 0x0
	v_mov_b32_e32 v3, -1
	v_not_b32_e32 v2, v0
	v_lshl_add_u64 v[2:3], s[10:11], 0, v[2:3]
	v_cmp_lt_u64_e32 vcc, 63, v[2:3]
	s_mov_b64 s[34:35], -1
	v_mov_b64_e32 v[6:7], v[0:1]
	s_and_saveexec_b64 s[30:31], vcc
	s_cbranch_execz .LBB35_7
; %bb.4:
	s_lshl_b64 s[34:35], s[14:15], 2
	s_waitcnt lgkmcnt(0)
	s_add_u32 s3, s28, s34
	v_lshrrev_b64 v[2:3], 6, v[2:3]
	s_addc_u32 s7, s29, s35
	s_lshl_b64 s[34:35], s[26:27], 2
	v_lshl_add_u64 v[2:3], v[2:3], 0, 1
	s_add_u32 s34, s3, s34
	v_and_b32_e32 v4, -2, v2
	v_mov_b32_e32 v5, v3
	v_mov_b32_e32 v9, 0
	s_addc_u32 s35, s7, s35
	s_mov_b32 s3, s24
	s_mov_b32 s7, s25
	v_or_b32_e32 v6, 64, v0
	v_mov_b32_e32 v8, v0
	v_mov_b32_e32 v7, v9
	s_mov_b64 s[36:37], 0
	s_mov_b64 s[38:39], 0x80
	v_mov_b64_e32 v[10:11], v[4:5]
.LBB35_5:                               ; =>This Inner Loop Header: Depth=1
	v_mul_lo_u32 v18, v9, s24
	v_mul_lo_u32 v19, v8, s25
	v_mad_u64_u32 v[14:15], s[40:41], v8, s24, 0
	v_mul_lo_u32 v16, v7, s3
	v_mul_lo_u32 v17, v6, s7
	v_mad_u64_u32 v[12:13], s[40:41], v6, s3, 0
	v_add3_u32 v15, v15, v19, v18
	v_add3_u32 v13, v13, v17, v16
	v_lshl_add_u64 v[14:15], v[14:15], 2, s[34:35]
	v_lshl_add_u64 v[12:13], v[12:13], 2, s[34:35]
	flat_load_dword v16, v[14:15]
	flat_load_dword v17, v[12:13]
	v_lshl_add_u64 v[10:11], v[10:11], 0, -2
	v_cmp_eq_u64_e32 vcc, 0, v[10:11]
	v_lshlrev_b32_e32 v12, 2, v8
	v_lshlrev_b32_e32 v13, 2, v6
	v_lshl_add_u64 v[6:7], v[6:7], 0, s[38:39]
	v_lshl_add_u64 v[8:9], v[8:9], 0, s[38:39]
	s_or_b64 s[36:37], vcc, s[36:37]
	s_waitcnt vmcnt(0) lgkmcnt(0)
	ds_write_b32 v12, v16
	ds_write_b32 v13, v17
	s_andn2_b64 exec, exec, s[36:37]
	s_cbranch_execnz .LBB35_5
; %bb.6:
	s_or_b64 exec, exec, s[36:37]
	v_lshlrev_b64 v[6:7], 6, v[4:5]
	v_cmp_ne_u64_e32 vcc, v[2:3], v[4:5]
	v_or_b32_e32 v6, v6, v0
	s_orn2_b64 s[34:35], vcc, exec
.LBB35_7:
	s_or_b64 exec, exec, s[30:31]
	s_and_b64 exec, exec, s[34:35]
	s_cbranch_execz .LBB35_10
; %bb.8:
	s_lshl_b64 s[26:27], s[26:27], 2
	s_lshl_b64 s[14:15], s[14:15], 2
	s_waitcnt lgkmcnt(0)
	s_add_u32 s3, s28, s14
	s_addc_u32 s7, s29, s15
	v_mul_lo_u32 v4, v7, s24
	v_mul_lo_u32 v5, v6, s25
	v_mad_u64_u32 v[2:3], s[30:31], v6, s24, 0
	s_add_u32 s14, s3, s26
	v_add3_u32 v3, v3, v5, v4
	s_addc_u32 s15, s7, s27
	v_lshl_add_u64 v[2:3], v[2:3], 2, s[14:15]
	s_lshl_b64 s[14:15], s[24:25], 8
	v_lshlrev_b32_e32 v4, 2, v6
	s_mov_b64 s[24:25], 0
.LBB35_9:                               ; =>This Inner Loop Header: Depth=1
	flat_load_dword v5, v[2:3]
	v_lshl_add_u64 v[6:7], v[6:7], 0, 64
	v_cmp_le_i64_e32 vcc, s[10:11], v[6:7]
	v_lshl_add_u64 v[2:3], v[2:3], 0, s[14:15]
	s_or_b64 s[24:25], vcc, s[24:25]
	s_waitcnt vmcnt(0) lgkmcnt(0)
	ds_write_b32 v4, v5
	v_add_u32_e32 v4, 0x100, v4
	s_andn2_b64 exec, exec, s[24:25]
	s_cbranch_execnz .LBB35_9
.LBB35_10:
	s_or_b64 exec, exec, s[12:13]
	s_mov_b32 s7, 0
	v_mov_b64_e32 v[2:3], s[6:7]
	v_cmp_le_i64_e32 vcc, s[8:9], v[2:3]
	s_waitcnt lgkmcnt(0)
	; wave barrier
	s_cbranch_vccnz .LBB35_28
; %bb.11:
	s_load_dwordx2 s[28:29], s[0:1], 0x50
	s_lshl_b64 s[22:23], s[22:23], 2
	s_add_u32 s24, s20, s22
	s_mul_i32 s0, s19, s2
	s_mul_hi_u32 s1, s18, s2
	s_addc_u32 s25, s21, s23
	s_add_i32 s1, s1, s0
	s_mul_i32 s0, s18, s2
	s_lshl_b64 s[0:1], s[0:1], 2
	s_add_u32 s0, s16, s0
	s_addc_u32 s1, s17, s1
	s_waitcnt lgkmcnt(0)
	v_mad_u64_u32 v[2:3], s[16:17], s28, v0, 0
	v_mov_b32_e32 v4, v3
	s_cmp_gt_i32 s10, 1
	v_mad_u64_u32 v[4:5], s[16:17], s29, v0, v[4:5]
	s_cselect_b64 s[12:13], -1, 0
	s_lshl_b32 s26, s28, 6
	s_lshl_b64 s[16:17], s[6:7], 2
	s_add_u32 s16, s20, s16
	s_addc_u32 s17, s21, s17
	s_add_u32 s16, s16, s22
	v_mbcnt_lo_u32_b32 v6, -1, 0
	v_mov_b32_e32 v3, v4
	s_addc_u32 s17, s17, s23
	v_mbcnt_hi_u32_b32 v14, -1, v6
	v_mov_b32_e32 v6, 0x80
	v_cmp_gt_i32_e64 s[2:3], s10, v0
	v_cmp_eq_u32_e64 s[14:15], 0, v0
	v_lshrrev_b32_e32 v10, 4, v0
	v_lshlrev_b32_e32 v11, 2, v0
	v_mul_lo_u32 v12, v0, s28
	v_lshl_add_u64 v[2:3], v[2:3], 2, s[16:17]
	s_lshl_b64 s[16:17], s[28:29], 8
	v_mov_b32_e32 v13, 0
	s_mov_b64 s[18:19], 0x100
	v_mov_b64_e32 v[4:5], s[8:9]
	v_and_b32_e32 v15, 63, v14
	v_lshl_or_b32 v16, v14, 2, v6
	s_branch .LBB35_13
.LBB35_12:                              ;   in Loop: Header=BB35_13 Depth=1
	s_or_b64 exec, exec, s[8:9]
	s_add_u32 s6, s6, 64
	s_addc_u32 s7, s7, 0
	v_cmp_ge_i64_e32 vcc, s[6:7], v[4:5]
	v_lshl_add_u64 v[2:3], v[2:3], 0, s[18:19]
	s_cbranch_vccnz .LBB35_28
.LBB35_13:                              ; =>This Loop Header: Depth=1
                                        ;     Child Loop BB35_15 Depth 2
                                        ;     Child Loop BB35_27 Depth 2
	v_mov_b32_e32 v8, 0
	s_and_saveexec_b64 s[8:9], s[2:3]
	s_cbranch_execz .LBB35_17
; %bb.14:                               ;   in Loop: Header=BB35_13 Depth=1
	s_lshl_b64 s[20:21], s[6:7], 2
	s_add_u32 s20, s24, s20
	s_addc_u32 s21, s25, s21
	v_mov_b32_e32 v8, 0
	s_mov_b64 s[22:23], 0
	v_mov_b32_e32 v6, v12
	v_mov_b32_e32 v9, v11
	;; [unrolled: 1-line block ×3, first 2 shown]
.LBB35_15:                              ;   Parent Loop BB35_13 Depth=1
                                        ; =>  This Inner Loop Header: Depth=2
	v_ashrrev_i32_e32 v7, 31, v6
	v_lshl_add_u64 v[18:19], v[6:7], 2, s[20:21]
	flat_load_dword v7, v[18:19]
	ds_read_b32 v18, v9
	v_add_u32_e32 v17, 64, v17
	v_cmp_le_i32_e32 vcc, s10, v17
	v_add_u32_e32 v9, 0x100, v9
	v_add_u32_e32 v6, s26, v6
	s_or_b64 s[22:23], vcc, s[22:23]
	s_waitcnt vmcnt(0) lgkmcnt(0)
	v_fmac_f32_e32 v8, v18, v7
	s_andn2_b64 exec, exec, s[22:23]
	s_cbranch_execnz .LBB35_15
; %bb.16:                               ;   in Loop: Header=BB35_13 Depth=1
	s_or_b64 exec, exec, s[22:23]
.LBB35_17:                              ;   in Loop: Header=BB35_13 Depth=1
	s_or_b64 exec, exec, s[8:9]
	s_and_b64 vcc, exec, s[12:13]
	s_cbranch_vccz .LBB35_22
; %bb.18:                               ;   in Loop: Header=BB35_13 Depth=1
	v_cmp_ne_u32_e32 vcc, 63, v15
	s_nop 1
	v_addc_co_u32_e32 v6, vcc, 0, v14, vcc
	v_lshlrev_b32_e32 v6, 2, v6
	ds_bpermute_b32 v6, v6, v8
	v_cmp_gt_u32_e32 vcc, 62, v15
	s_waitcnt lgkmcnt(0)
	v_add_f32_e32 v6, v8, v6
	v_cndmask_b32_e64 v7, 0, 2, vcc
	v_add_lshl_u32 v7, v7, v14, 2
	ds_bpermute_b32 v7, v7, v6
	v_cmp_gt_u32_e32 vcc, 60, v15
	s_waitcnt lgkmcnt(0)
	v_add_f32_e32 v6, v6, v7
	v_cndmask_b32_e64 v9, 0, 4, vcc
	v_add_lshl_u32 v9, v9, v14, 2
	;; [unrolled: 6-line block ×4, first 2 shown]
	ds_bpermute_b32 v7, v7, v6
	s_waitcnt lgkmcnt(0)
	v_add_f32_e32 v6, v6, v7
	ds_bpermute_b32 v7, v16, v6
	s_waitcnt lgkmcnt(0)
	v_add_f32_e32 v6, v6, v7
	s_and_saveexec_b64 s[8:9], s[14:15]
; %bb.19:                               ;   in Loop: Header=BB35_13 Depth=1
	ds_write_b32 v10, v6 offset:8192
; %bb.20:                               ;   in Loop: Header=BB35_13 Depth=1
	s_or_b64 exec, exec, s[8:9]
	s_waitcnt lgkmcnt(0)
	; wave barrier
	s_mov_b64 s[8:9], s[14:15]
.LBB35_21:                              ;   in Loop: Header=BB35_13 Depth=1
	v_mov_b32_e32 v8, v6
	s_and_saveexec_b64 s[20:21], s[8:9]
	s_cbranch_execnz .LBB35_24
	s_branch .LBB35_25
.LBB35_22:                              ;   in Loop: Header=BB35_13 Depth=1
	s_mov_b64 s[8:9], 0
                                        ; implicit-def: $vgpr6
	s_cbranch_execz .LBB35_21
; %bb.23:                               ;   in Loop: Header=BB35_13 Depth=1
	s_andn2_b64 s[8:9], s[8:9], exec
	s_and_b64 s[20:21], s[14:15], exec
	s_or_b64 s[8:9], s[8:9], s[20:21]
	s_and_saveexec_b64 s[20:21], s[8:9]
.LBB35_24:                              ;   in Loop: Header=BB35_13 Depth=1
	ds_write_b32 v13, v8 offset:8192
.LBB35_25:                              ;   in Loop: Header=BB35_13 Depth=1
	s_or_b64 exec, exec, s[20:21]
	s_waitcnt lgkmcnt(0)
	; wave barrier
	s_and_saveexec_b64 s[8:9], s[4:5]
	s_cbranch_execz .LBB35_12
; %bb.26:                               ;   in Loop: Header=BB35_13 Depth=1
	global_load_dword v8, v13, s[0:1]
	ds_read_b32 v9, v13 offset:8192
	s_mov_b64 s[20:21], 0
	v_mov_b32_e32 v17, v11
	v_mov_b64_e32 v[6:7], v[2:3]
	s_waitcnt vmcnt(0) lgkmcnt(0)
	v_mul_f32_e64 v18, v9, -v8
	v_mov_b64_e32 v[8:9], v[0:1]
.LBB35_27:                              ;   Parent Loop BB35_13 Depth=1
                                        ; =>  This Inner Loop Header: Depth=2
	flat_load_dword v19, v[6:7]
	ds_read_b32 v20, v17
	v_lshl_add_u64 v[8:9], v[8:9], 0, 64
	v_cmp_le_i64_e32 vcc, s[10:11], v[8:9]
	s_or_b64 s[20:21], vcc, s[20:21]
	v_add_u32_e32 v17, 0x100, v17
	s_waitcnt vmcnt(0) lgkmcnt(0)
	v_fmac_f32_e32 v19, v18, v20
	flat_store_dword v[6:7], v19
	v_lshl_add_u64 v[6:7], v[6:7], 0, s[16:17]
	s_andn2_b64 exec, exec, s[20:21]
	s_cbranch_execnz .LBB35_27
	s_branch .LBB35_12
.LBB35_28:
	s_endpgm
	.section	.rodata,"a",@progbits
	.p2align	6, 0x0
	.amdhsa_kernel _ZN9rocsolver6v33100L23larf_right_kernel_smallILi64EflPKPfEEvT1_S5_T2_lS5_lPKT0_lS6_lS5_l
		.amdhsa_group_segment_fixed_size 8196
		.amdhsa_private_segment_fixed_size 0
		.amdhsa_kernarg_size 96
		.amdhsa_user_sgpr_count 2
		.amdhsa_user_sgpr_dispatch_ptr 0
		.amdhsa_user_sgpr_queue_ptr 0
		.amdhsa_user_sgpr_kernarg_segment_ptr 1
		.amdhsa_user_sgpr_dispatch_id 0
		.amdhsa_user_sgpr_kernarg_preload_length 0
		.amdhsa_user_sgpr_kernarg_preload_offset 0
		.amdhsa_user_sgpr_private_segment_size 0
		.amdhsa_uses_dynamic_stack 0
		.amdhsa_enable_private_segment 0
		.amdhsa_system_sgpr_workgroup_id_x 1
		.amdhsa_system_sgpr_workgroup_id_y 1
		.amdhsa_system_sgpr_workgroup_id_z 0
		.amdhsa_system_sgpr_workgroup_info 0
		.amdhsa_system_vgpr_workitem_id 0
		.amdhsa_next_free_vgpr 81
		.amdhsa_next_free_sgpr 96
		.amdhsa_accum_offset 24
		.amdhsa_reserve_vcc 1
		.amdhsa_float_round_mode_32 0
		.amdhsa_float_round_mode_16_64 0
		.amdhsa_float_denorm_mode_32 3
		.amdhsa_float_denorm_mode_16_64 3
		.amdhsa_dx10_clamp 1
		.amdhsa_ieee_mode 1
		.amdhsa_fp16_overflow 0
		.amdhsa_tg_split 0
		.amdhsa_exception_fp_ieee_invalid_op 0
		.amdhsa_exception_fp_denorm_src 0
		.amdhsa_exception_fp_ieee_div_zero 0
		.amdhsa_exception_fp_ieee_overflow 0
		.amdhsa_exception_fp_ieee_underflow 0
		.amdhsa_exception_fp_ieee_inexact 0
		.amdhsa_exception_int_div_zero 0
	.end_amdhsa_kernel
	.section	.text._ZN9rocsolver6v33100L23larf_right_kernel_smallILi64EflPKPfEEvT1_S5_T2_lS5_lPKT0_lS6_lS5_l,"axG",@progbits,_ZN9rocsolver6v33100L23larf_right_kernel_smallILi64EflPKPfEEvT1_S5_T2_lS5_lPKT0_lS6_lS5_l,comdat
.Lfunc_end35:
	.size	_ZN9rocsolver6v33100L23larf_right_kernel_smallILi64EflPKPfEEvT1_S5_T2_lS5_lPKT0_lS6_lS5_l, .Lfunc_end35-_ZN9rocsolver6v33100L23larf_right_kernel_smallILi64EflPKPfEEvT1_S5_T2_lS5_lPKT0_lS6_lS5_l
                                        ; -- End function
	.set _ZN9rocsolver6v33100L23larf_right_kernel_smallILi64EflPKPfEEvT1_S5_T2_lS5_lPKT0_lS6_lS5_l.num_vgpr, 21
	.set _ZN9rocsolver6v33100L23larf_right_kernel_smallILi64EflPKPfEEvT1_S5_T2_lS5_lPKT0_lS6_lS5_l.num_agpr, 0
	.set _ZN9rocsolver6v33100L23larf_right_kernel_smallILi64EflPKPfEEvT1_S5_T2_lS5_lPKT0_lS6_lS5_l.numbered_sgpr, 42
	.set _ZN9rocsolver6v33100L23larf_right_kernel_smallILi64EflPKPfEEvT1_S5_T2_lS5_lPKT0_lS6_lS5_l.num_named_barrier, 0
	.set _ZN9rocsolver6v33100L23larf_right_kernel_smallILi64EflPKPfEEvT1_S5_T2_lS5_lPKT0_lS6_lS5_l.private_seg_size, 0
	.set _ZN9rocsolver6v33100L23larf_right_kernel_smallILi64EflPKPfEEvT1_S5_T2_lS5_lPKT0_lS6_lS5_l.uses_vcc, 1
	.set _ZN9rocsolver6v33100L23larf_right_kernel_smallILi64EflPKPfEEvT1_S5_T2_lS5_lPKT0_lS6_lS5_l.uses_flat_scratch, 0
	.set _ZN9rocsolver6v33100L23larf_right_kernel_smallILi64EflPKPfEEvT1_S5_T2_lS5_lPKT0_lS6_lS5_l.has_dyn_sized_stack, 0
	.set _ZN9rocsolver6v33100L23larf_right_kernel_smallILi64EflPKPfEEvT1_S5_T2_lS5_lPKT0_lS6_lS5_l.has_recursion, 0
	.set _ZN9rocsolver6v33100L23larf_right_kernel_smallILi64EflPKPfEEvT1_S5_T2_lS5_lPKT0_lS6_lS5_l.has_indirect_call, 0
	.section	.AMDGPU.csdata,"",@progbits
; Kernel info:
; codeLenInByte = 1404
; TotalNumSgprs: 48
; NumVgprs: 21
; NumAgprs: 0
; TotalNumVgprs: 21
; ScratchSize: 0
; MemoryBound: 0
; FloatMode: 240
; IeeeMode: 1
; LDSByteSize: 8196 bytes/workgroup (compile time only)
; SGPRBlocks: 12
; VGPRBlocks: 10
; NumSGPRsForWavesPerEU: 102
; NumVGPRsForWavesPerEU: 81
; AccumOffset: 24
; Occupancy: 5
; WaveLimiterHint : 1
; COMPUTE_PGM_RSRC2:SCRATCH_EN: 0
; COMPUTE_PGM_RSRC2:USER_SGPR: 2
; COMPUTE_PGM_RSRC2:TRAP_HANDLER: 0
; COMPUTE_PGM_RSRC2:TGID_X_EN: 1
; COMPUTE_PGM_RSRC2:TGID_Y_EN: 1
; COMPUTE_PGM_RSRC2:TGID_Z_EN: 0
; COMPUTE_PGM_RSRC2:TIDIG_COMP_CNT: 0
; COMPUTE_PGM_RSRC3_GFX90A:ACCUM_OFFSET: 5
; COMPUTE_PGM_RSRC3_GFX90A:TG_SPLIT: 0
	.section	.text._ZN9rocsolver6v33100L23larf_right_kernel_smallILi128EflPKPfEEvT1_S5_T2_lS5_lPKT0_lS6_lS5_l,"axG",@progbits,_ZN9rocsolver6v33100L23larf_right_kernel_smallILi128EflPKPfEEvT1_S5_T2_lS5_lPKT0_lS6_lS5_l,comdat
	.globl	_ZN9rocsolver6v33100L23larf_right_kernel_smallILi128EflPKPfEEvT1_S5_T2_lS5_lPKT0_lS6_lS5_l ; -- Begin function _ZN9rocsolver6v33100L23larf_right_kernel_smallILi128EflPKPfEEvT1_S5_T2_lS5_lPKT0_lS6_lS5_l
	.p2align	8
	.type	_ZN9rocsolver6v33100L23larf_right_kernel_smallILi128EflPKPfEEvT1_S5_T2_lS5_lPKT0_lS6_lS5_l,@function
_ZN9rocsolver6v33100L23larf_right_kernel_smallILi128EflPKPfEEvT1_S5_T2_lS5_lPKT0_lS6_lS5_l: ; @_ZN9rocsolver6v33100L23larf_right_kernel_smallILi128EflPKPfEEvT1_S5_T2_lS5_lPKT0_lS6_lS5_l
; %bb.0:
	s_load_dwordx8 s[12:19], s[0:1], 0x0
	s_load_dwordx2 s[22:23], s[0:1], 0x20
	s_load_dwordx8 s[4:11], s[0:1], 0x30
	s_mov_b32 s20, s3
	s_mov_b32 s3, 0
	s_lshl_b64 s[24:25], s[2:3], 3
	s_waitcnt lgkmcnt(0)
	s_add_u32 s28, s16, s24
	s_addc_u32 s29, s17, s25
	s_add_u32 s8, s8, s24
	v_cmp_gt_i64_e64 s[16:17], s[22:23], 0
	s_addc_u32 s9, s9, s25
	s_mov_b64 s[26:27], 0
	s_and_b64 vcc, exec, s[16:17]
	s_cbranch_vccnz .LBB36_2
; %bb.1:
	s_sub_u32 s3, 1, s14
	s_subb_u32 s16, 0, s15
	s_mul_i32 s16, s22, s16
	s_mul_hi_u32 s17, s22, s3
	s_add_i32 s16, s17, s16
	s_mul_i32 s17, s23, s3
	s_add_i32 s27, s16, s17
	s_mul_i32 s26, s22, s3
.LBB36_2:
	s_load_dwordx2 s[16:17], s[8:9], 0x0
	v_mov_b32_e32 v1, 0
	v_cmp_gt_i64_e64 s[8:9], s[14:15], v[0:1]
	s_and_saveexec_b64 s[24:25], s[8:9]
	s_cbranch_execz .LBB36_10
; %bb.3:
	s_load_dwordx2 s[28:29], s[28:29], 0x0
	v_mov_b32_e32 v3, -1
	v_not_b32_e32 v2, v0
	v_lshl_add_u64 v[2:3], s[14:15], 0, v[2:3]
	s_mov_b64 s[30:31], 0x7f
	v_cmp_lt_u64_e32 vcc, s[30:31], v[2:3]
	s_mov_b64 s[34:35], -1
	v_mov_b64_e32 v[6:7], v[0:1]
	s_and_saveexec_b64 s[30:31], vcc
	s_cbranch_execz .LBB36_7
; %bb.4:
	s_lshl_b64 s[34:35], s[18:19], 2
	s_waitcnt lgkmcnt(0)
	s_add_u32 s3, s28, s34
	v_lshrrev_b64 v[2:3], 7, v[2:3]
	s_addc_u32 s21, s29, s35
	s_lshl_b64 s[34:35], s[26:27], 2
	v_lshl_add_u64 v[2:3], v[2:3], 0, 1
	s_add_u32 s34, s3, s34
	v_and_b32_e32 v4, -2, v2
	v_mov_b32_e32 v5, v3
	v_mov_b32_e32 v9, 0
	s_addc_u32 s35, s21, s35
	s_mov_b32 s3, s22
	s_mov_b32 s21, s23
	v_or_b32_e32 v6, 0x80, v0
	v_mov_b32_e32 v8, v0
	v_mov_b32_e32 v7, v9
	s_mov_b64 s[36:37], 0
	s_mov_b64 s[38:39], 0x100
	v_mov_b64_e32 v[10:11], v[4:5]
.LBB36_5:                               ; =>This Inner Loop Header: Depth=1
	v_mul_lo_u32 v18, v9, s22
	v_mul_lo_u32 v19, v8, s23
	v_mad_u64_u32 v[14:15], s[40:41], v8, s22, 0
	v_mul_lo_u32 v16, v7, s3
	v_mul_lo_u32 v17, v6, s21
	v_mad_u64_u32 v[12:13], s[40:41], v6, s3, 0
	v_add3_u32 v15, v15, v19, v18
	v_add3_u32 v13, v13, v17, v16
	v_lshl_add_u64 v[14:15], v[14:15], 2, s[34:35]
	v_lshl_add_u64 v[12:13], v[12:13], 2, s[34:35]
	flat_load_dword v16, v[14:15]
	flat_load_dword v17, v[12:13]
	v_lshl_add_u64 v[10:11], v[10:11], 0, -2
	v_cmp_eq_u64_e32 vcc, 0, v[10:11]
	v_lshlrev_b32_e32 v12, 2, v8
	v_lshlrev_b32_e32 v13, 2, v6
	v_lshl_add_u64 v[6:7], v[6:7], 0, s[38:39]
	v_lshl_add_u64 v[8:9], v[8:9], 0, s[38:39]
	s_or_b64 s[36:37], vcc, s[36:37]
	s_waitcnt vmcnt(0) lgkmcnt(0)
	ds_write_b32 v12, v16
	ds_write_b32 v13, v17
	s_andn2_b64 exec, exec, s[36:37]
	s_cbranch_execnz .LBB36_5
; %bb.6:
	s_or_b64 exec, exec, s[36:37]
	v_lshlrev_b64 v[6:7], 7, v[4:5]
	v_cmp_ne_u64_e32 vcc, v[2:3], v[4:5]
	v_or_b32_e32 v6, v6, v0
	s_orn2_b64 s[34:35], vcc, exec
.LBB36_7:
	s_or_b64 exec, exec, s[30:31]
	s_and_b64 exec, exec, s[34:35]
	s_cbranch_execz .LBB36_10
; %bb.8:
	s_lshl_b64 s[26:27], s[26:27], 2
	s_lshl_b64 s[18:19], s[18:19], 2
	s_waitcnt lgkmcnt(0)
	s_add_u32 s3, s28, s18
	s_addc_u32 s19, s29, s19
	v_mul_lo_u32 v4, v7, s22
	v_mul_lo_u32 v5, v6, s23
	v_mad_u64_u32 v[2:3], s[30:31], v6, s22, 0
	s_add_u32 s18, s3, s26
	v_add3_u32 v3, v3, v5, v4
	s_addc_u32 s19, s19, s27
	v_lshl_add_u64 v[2:3], v[2:3], 2, s[18:19]
	s_lshl_b64 s[18:19], s[22:23], 9
	v_lshlrev_b32_e32 v4, 2, v6
	s_mov_b64 s[22:23], 0
	s_mov_b64 s[26:27], 0x80
.LBB36_9:                               ; =>This Inner Loop Header: Depth=1
	flat_load_dword v5, v[2:3]
	v_lshl_add_u64 v[6:7], v[6:7], 0, s[26:27]
	v_cmp_le_i64_e32 vcc, s[14:15], v[6:7]
	v_lshl_add_u64 v[2:3], v[2:3], 0, s[18:19]
	s_or_b64 s[22:23], vcc, s[22:23]
	s_waitcnt vmcnt(0) lgkmcnt(0)
	ds_write_b32 v4, v5
	v_add_u32_e32 v4, 0x200, v4
	s_andn2_b64 exec, exec, s[22:23]
	s_cbranch_execnz .LBB36_9
.LBB36_10:
	s_or_b64 exec, exec, s[24:25]
	s_mov_b32 s21, 0
	v_mov_b64_e32 v[2:3], s[20:21]
	v_cmp_le_i64_e32 vcc, s[12:13], v[2:3]
	s_waitcnt lgkmcnt(0)
	s_barrier
	s_cbranch_vccnz .LBB36_30
; %bb.11:
	s_load_dwordx2 s[18:19], s[0:1], 0x50
	s_lshl_b64 s[22:23], s[10:11], 2
	s_add_u32 s28, s16, s22
	s_mul_i32 s0, s7, s2
	s_mul_hi_u32 s1, s6, s2
	s_addc_u32 s29, s17, s23
	s_add_i32 s1, s1, s0
	s_mul_i32 s0, s6, s2
	s_lshl_b64 s[0:1], s[0:1], 2
	s_add_u32 s0, s4, s0
	v_and_b32_e32 v2, 63, v0
	s_addc_u32 s1, s5, s1
	v_cmp_eq_u32_e64 s[4:5], 0, v2
	s_waitcnt lgkmcnt(0)
	v_mad_u64_u32 v[2:3], s[24:25], s18, v0, 0
	v_mov_b32_e32 v4, v3
	s_cmp_gt_i32 s14, 1
	v_mad_u64_u32 v[4:5], s[24:25], s19, v0, v[4:5]
	s_cselect_b64 s[10:11], -1, 0
	s_lshl_b32 s30, s18, 7
	s_lshl_b64 s[24:25], s[20:21], 2
	s_add_u32 s16, s16, s24
	s_addc_u32 s17, s17, s25
	s_add_u32 s16, s16, s22
	v_mbcnt_lo_u32_b32 v6, -1, 0
	v_mov_b32_e32 v3, v4
	s_addc_u32 s17, s17, s23
	v_mbcnt_hi_u32_b32 v14, -1, v6
	v_mov_b32_e32 v6, 0x80
	v_cmp_gt_i32_e64 s[2:3], s14, v0
	v_lshrrev_b32_e32 v10, 4, v0
	v_cmp_eq_u32_e64 s[6:7], 0, v0
	v_lshlrev_b32_e32 v11, 2, v0
	v_mul_lo_u32 v12, v0, s18
	v_lshl_add_u64 v[2:3], v[2:3], 2, s[16:17]
	s_lshl_b64 s[16:17], s[18:19], 9
	v_mov_b32_e32 v13, 0
	s_mov_b64 s[18:19], 0x80
	s_mov_b64 s[22:23], 0x100
	v_mov_b64_e32 v[4:5], s[12:13]
	v_and_b32_e32 v15, 63, v14
	v_lshl_or_b32 v16, v14, 2, v6
	s_branch .LBB36_13
.LBB36_12:                              ;   in Loop: Header=BB36_13 Depth=1
	s_or_b64 exec, exec, s[12:13]
	s_add_u32 s20, s20, 64
	s_addc_u32 s21, s21, 0
	v_cmp_ge_i64_e32 vcc, s[20:21], v[4:5]
	v_lshl_add_u64 v[2:3], v[2:3], 0, s[22:23]
	s_cbranch_vccnz .LBB36_30
.LBB36_13:                              ; =>This Loop Header: Depth=1
                                        ;     Child Loop BB36_15 Depth 2
                                        ;     Child Loop BB36_29 Depth 2
	v_mov_b32_e32 v8, 0
	s_and_saveexec_b64 s[12:13], s[2:3]
	s_cbranch_execz .LBB36_17
; %bb.14:                               ;   in Loop: Header=BB36_13 Depth=1
	s_lshl_b64 s[24:25], s[20:21], 2
	s_add_u32 s24, s28, s24
	s_addc_u32 s25, s29, s25
	v_mov_b32_e32 v8, 0
	s_mov_b64 s[26:27], 0
	v_mov_b32_e32 v6, v12
	v_mov_b32_e32 v9, v11
	;; [unrolled: 1-line block ×3, first 2 shown]
.LBB36_15:                              ;   Parent Loop BB36_13 Depth=1
                                        ; =>  This Inner Loop Header: Depth=2
	v_ashrrev_i32_e32 v7, 31, v6
	v_lshl_add_u64 v[18:19], v[6:7], 2, s[24:25]
	flat_load_dword v7, v[18:19]
	ds_read_b32 v18, v9
	v_add_u32_e32 v17, 0x80, v17
	v_cmp_le_i32_e32 vcc, s14, v17
	v_add_u32_e32 v9, 0x200, v9
	v_add_u32_e32 v6, s30, v6
	s_or_b64 s[26:27], vcc, s[26:27]
	s_waitcnt vmcnt(0) lgkmcnt(0)
	v_fmac_f32_e32 v8, v18, v7
	s_andn2_b64 exec, exec, s[26:27]
	s_cbranch_execnz .LBB36_15
; %bb.16:                               ;   in Loop: Header=BB36_13 Depth=1
	s_or_b64 exec, exec, s[26:27]
.LBB36_17:                              ;   in Loop: Header=BB36_13 Depth=1
	s_or_b64 exec, exec, s[12:13]
	s_and_b64 vcc, exec, s[10:11]
	s_cbranch_vccz .LBB36_24
; %bb.18:                               ;   in Loop: Header=BB36_13 Depth=1
	v_cmp_ne_u32_e32 vcc, 63, v15
	s_nop 1
	v_addc_co_u32_e32 v6, vcc, 0, v14, vcc
	v_lshlrev_b32_e32 v6, 2, v6
	ds_bpermute_b32 v6, v6, v8
	v_cmp_gt_u32_e32 vcc, 62, v15
	s_waitcnt lgkmcnt(0)
	v_add_f32_e32 v6, v8, v6
	v_cndmask_b32_e64 v7, 0, 2, vcc
	v_add_lshl_u32 v7, v7, v14, 2
	ds_bpermute_b32 v7, v7, v6
	v_cmp_gt_u32_e32 vcc, 60, v15
	s_waitcnt lgkmcnt(0)
	v_add_f32_e32 v6, v6, v7
	v_cndmask_b32_e64 v9, 0, 4, vcc
	v_add_lshl_u32 v9, v9, v14, 2
	;; [unrolled: 6-line block ×4, first 2 shown]
	ds_bpermute_b32 v7, v7, v6
	s_waitcnt lgkmcnt(0)
	v_add_f32_e32 v6, v6, v7
	ds_bpermute_b32 v7, v16, v6
	s_waitcnt lgkmcnt(0)
	v_add_f32_e32 v7, v6, v7
	s_and_saveexec_b64 s[12:13], s[4:5]
; %bb.19:                               ;   in Loop: Header=BB36_13 Depth=1
	ds_write_b32 v10, v7 offset:8192
; %bb.20:                               ;   in Loop: Header=BB36_13 Depth=1
	s_or_b64 exec, exec, s[12:13]
	s_mov_b64 s[24:25], 0
	s_mov_b64 s[12:13], 0
	s_waitcnt lgkmcnt(0)
	s_barrier
                                        ; implicit-def: $vgpr6
	s_and_saveexec_b64 s[26:27], s[6:7]
	s_xor_b64 s[26:27], exec, s[26:27]
	s_cbranch_execz .LBB36_22
; %bb.21:                               ;   in Loop: Header=BB36_13 Depth=1
	ds_read_b32 v6, v13 offset:8196
	s_mov_b64 s[12:13], exec
	s_waitcnt lgkmcnt(0)
	v_add_f32_e32 v6, v7, v6
.LBB36_22:                              ;   in Loop: Header=BB36_13 Depth=1
	s_or_b64 exec, exec, s[26:27]
	s_and_b64 vcc, exec, s[24:25]
	s_cbranch_vccnz .LBB36_25
.LBB36_23:                              ;   in Loop: Header=BB36_13 Depth=1
	v_mov_b32_e32 v8, v6
	s_and_saveexec_b64 s[24:25], s[12:13]
	s_cbranch_execnz .LBB36_26
	s_branch .LBB36_27
.LBB36_24:                              ;   in Loop: Header=BB36_13 Depth=1
	s_mov_b64 s[12:13], 0
                                        ; implicit-def: $vgpr6
	s_cbranch_execz .LBB36_23
.LBB36_25:                              ;   in Loop: Header=BB36_13 Depth=1
	s_andn2_b64 s[12:13], s[12:13], exec
	s_and_b64 s[24:25], s[6:7], exec
	s_or_b64 s[12:13], s[12:13], s[24:25]
	s_and_saveexec_b64 s[24:25], s[12:13]
.LBB36_26:                              ;   in Loop: Header=BB36_13 Depth=1
	ds_write_b32 v13, v8 offset:8192
.LBB36_27:                              ;   in Loop: Header=BB36_13 Depth=1
	s_or_b64 exec, exec, s[24:25]
	s_waitcnt lgkmcnt(0)
	s_barrier
	s_and_saveexec_b64 s[12:13], s[8:9]
	s_cbranch_execz .LBB36_12
; %bb.28:                               ;   in Loop: Header=BB36_13 Depth=1
	global_load_dword v8, v13, s[0:1]
	ds_read_b32 v9, v13 offset:8192
	s_mov_b64 s[24:25], 0
	v_mov_b32_e32 v17, v11
	v_mov_b64_e32 v[6:7], v[2:3]
	s_waitcnt vmcnt(0) lgkmcnt(0)
	v_mul_f32_e64 v18, v9, -v8
	v_mov_b64_e32 v[8:9], v[0:1]
.LBB36_29:                              ;   Parent Loop BB36_13 Depth=1
                                        ; =>  This Inner Loop Header: Depth=2
	flat_load_dword v19, v[6:7]
	ds_read_b32 v20, v17
	v_lshl_add_u64 v[8:9], v[8:9], 0, s[18:19]
	v_cmp_le_i64_e32 vcc, s[14:15], v[8:9]
	s_or_b64 s[24:25], vcc, s[24:25]
	v_add_u32_e32 v17, 0x200, v17
	s_waitcnt vmcnt(0) lgkmcnt(0)
	v_fmac_f32_e32 v19, v18, v20
	flat_store_dword v[6:7], v19
	v_lshl_add_u64 v[6:7], v[6:7], 0, s[16:17]
	s_andn2_b64 exec, exec, s[24:25]
	s_cbranch_execnz .LBB36_29
	s_branch .LBB36_12
.LBB36_30:
	s_endpgm
	.section	.rodata,"a",@progbits
	.p2align	6, 0x0
	.amdhsa_kernel _ZN9rocsolver6v33100L23larf_right_kernel_smallILi128EflPKPfEEvT1_S5_T2_lS5_lPKT0_lS6_lS5_l
		.amdhsa_group_segment_fixed_size 8200
		.amdhsa_private_segment_fixed_size 0
		.amdhsa_kernarg_size 96
		.amdhsa_user_sgpr_count 2
		.amdhsa_user_sgpr_dispatch_ptr 0
		.amdhsa_user_sgpr_queue_ptr 0
		.amdhsa_user_sgpr_kernarg_segment_ptr 1
		.amdhsa_user_sgpr_dispatch_id 0
		.amdhsa_user_sgpr_kernarg_preload_length 0
		.amdhsa_user_sgpr_kernarg_preload_offset 0
		.amdhsa_user_sgpr_private_segment_size 0
		.amdhsa_uses_dynamic_stack 0
		.amdhsa_enable_private_segment 0
		.amdhsa_system_sgpr_workgroup_id_x 1
		.amdhsa_system_sgpr_workgroup_id_y 1
		.amdhsa_system_sgpr_workgroup_id_z 0
		.amdhsa_system_sgpr_workgroup_info 0
		.amdhsa_system_vgpr_workitem_id 0
		.amdhsa_next_free_vgpr 21
		.amdhsa_next_free_sgpr 42
		.amdhsa_accum_offset 24
		.amdhsa_reserve_vcc 1
		.amdhsa_float_round_mode_32 0
		.amdhsa_float_round_mode_16_64 0
		.amdhsa_float_denorm_mode_32 3
		.amdhsa_float_denorm_mode_16_64 3
		.amdhsa_dx10_clamp 1
		.amdhsa_ieee_mode 1
		.amdhsa_fp16_overflow 0
		.amdhsa_tg_split 0
		.amdhsa_exception_fp_ieee_invalid_op 0
		.amdhsa_exception_fp_denorm_src 0
		.amdhsa_exception_fp_ieee_div_zero 0
		.amdhsa_exception_fp_ieee_overflow 0
		.amdhsa_exception_fp_ieee_underflow 0
		.amdhsa_exception_fp_ieee_inexact 0
		.amdhsa_exception_int_div_zero 0
	.end_amdhsa_kernel
	.section	.text._ZN9rocsolver6v33100L23larf_right_kernel_smallILi128EflPKPfEEvT1_S5_T2_lS5_lPKT0_lS6_lS5_l,"axG",@progbits,_ZN9rocsolver6v33100L23larf_right_kernel_smallILi128EflPKPfEEvT1_S5_T2_lS5_lPKT0_lS6_lS5_l,comdat
.Lfunc_end36:
	.size	_ZN9rocsolver6v33100L23larf_right_kernel_smallILi128EflPKPfEEvT1_S5_T2_lS5_lPKT0_lS6_lS5_l, .Lfunc_end36-_ZN9rocsolver6v33100L23larf_right_kernel_smallILi128EflPKPfEEvT1_S5_T2_lS5_lPKT0_lS6_lS5_l
                                        ; -- End function
	.set _ZN9rocsolver6v33100L23larf_right_kernel_smallILi128EflPKPfEEvT1_S5_T2_lS5_lPKT0_lS6_lS5_l.num_vgpr, 21
	.set _ZN9rocsolver6v33100L23larf_right_kernel_smallILi128EflPKPfEEvT1_S5_T2_lS5_lPKT0_lS6_lS5_l.num_agpr, 0
	.set _ZN9rocsolver6v33100L23larf_right_kernel_smallILi128EflPKPfEEvT1_S5_T2_lS5_lPKT0_lS6_lS5_l.numbered_sgpr, 42
	.set _ZN9rocsolver6v33100L23larf_right_kernel_smallILi128EflPKPfEEvT1_S5_T2_lS5_lPKT0_lS6_lS5_l.num_named_barrier, 0
	.set _ZN9rocsolver6v33100L23larf_right_kernel_smallILi128EflPKPfEEvT1_S5_T2_lS5_lPKT0_lS6_lS5_l.private_seg_size, 0
	.set _ZN9rocsolver6v33100L23larf_right_kernel_smallILi128EflPKPfEEvT1_S5_T2_lS5_lPKT0_lS6_lS5_l.uses_vcc, 1
	.set _ZN9rocsolver6v33100L23larf_right_kernel_smallILi128EflPKPfEEvT1_S5_T2_lS5_lPKT0_lS6_lS5_l.uses_flat_scratch, 0
	.set _ZN9rocsolver6v33100L23larf_right_kernel_smallILi128EflPKPfEEvT1_S5_T2_lS5_lPKT0_lS6_lS5_l.has_dyn_sized_stack, 0
	.set _ZN9rocsolver6v33100L23larf_right_kernel_smallILi128EflPKPfEEvT1_S5_T2_lS5_lPKT0_lS6_lS5_l.has_recursion, 0
	.set _ZN9rocsolver6v33100L23larf_right_kernel_smallILi128EflPKPfEEvT1_S5_T2_lS5_lPKT0_lS6_lS5_l.has_indirect_call, 0
	.section	.AMDGPU.csdata,"",@progbits
; Kernel info:
; codeLenInByte = 1508
; TotalNumSgprs: 48
; NumVgprs: 21
; NumAgprs: 0
; TotalNumVgprs: 21
; ScratchSize: 0
; MemoryBound: 0
; FloatMode: 240
; IeeeMode: 1
; LDSByteSize: 8200 bytes/workgroup (compile time only)
; SGPRBlocks: 5
; VGPRBlocks: 2
; NumSGPRsForWavesPerEU: 48
; NumVGPRsForWavesPerEU: 21
; AccumOffset: 24
; Occupancy: 8
; WaveLimiterHint : 1
; COMPUTE_PGM_RSRC2:SCRATCH_EN: 0
; COMPUTE_PGM_RSRC2:USER_SGPR: 2
; COMPUTE_PGM_RSRC2:TRAP_HANDLER: 0
; COMPUTE_PGM_RSRC2:TGID_X_EN: 1
; COMPUTE_PGM_RSRC2:TGID_Y_EN: 1
; COMPUTE_PGM_RSRC2:TGID_Z_EN: 0
; COMPUTE_PGM_RSRC2:TIDIG_COMP_CNT: 0
; COMPUTE_PGM_RSRC3_GFX90A:ACCUM_OFFSET: 5
; COMPUTE_PGM_RSRC3_GFX90A:TG_SPLIT: 0
	.section	.text._ZN9rocsolver6v33100L23larf_right_kernel_smallILi256EflPKPfEEvT1_S5_T2_lS5_lPKT0_lS6_lS5_l,"axG",@progbits,_ZN9rocsolver6v33100L23larf_right_kernel_smallILi256EflPKPfEEvT1_S5_T2_lS5_lPKT0_lS6_lS5_l,comdat
	.globl	_ZN9rocsolver6v33100L23larf_right_kernel_smallILi256EflPKPfEEvT1_S5_T2_lS5_lPKT0_lS6_lS5_l ; -- Begin function _ZN9rocsolver6v33100L23larf_right_kernel_smallILi256EflPKPfEEvT1_S5_T2_lS5_lPKT0_lS6_lS5_l
	.p2align	8
	.type	_ZN9rocsolver6v33100L23larf_right_kernel_smallILi256EflPKPfEEvT1_S5_T2_lS5_lPKT0_lS6_lS5_l,@function
_ZN9rocsolver6v33100L23larf_right_kernel_smallILi256EflPKPfEEvT1_S5_T2_lS5_lPKT0_lS6_lS5_l: ; @_ZN9rocsolver6v33100L23larf_right_kernel_smallILi256EflPKPfEEvT1_S5_T2_lS5_lPKT0_lS6_lS5_l
; %bb.0:
	s_load_dwordx8 s[12:19], s[0:1], 0x0
	s_load_dwordx2 s[22:23], s[0:1], 0x20
	s_load_dwordx8 s[4:11], s[0:1], 0x30
	s_mov_b32 s20, s3
	s_mov_b32 s3, 0
	s_lshl_b64 s[24:25], s[2:3], 3
	s_waitcnt lgkmcnt(0)
	s_add_u32 s28, s16, s24
	s_addc_u32 s29, s17, s25
	s_add_u32 s8, s8, s24
	v_cmp_gt_i64_e64 s[16:17], s[22:23], 0
	s_addc_u32 s9, s9, s25
	s_mov_b64 s[26:27], 0
	s_and_b64 vcc, exec, s[16:17]
	s_cbranch_vccnz .LBB37_2
; %bb.1:
	s_sub_u32 s3, 1, s14
	s_subb_u32 s16, 0, s15
	s_mul_i32 s16, s22, s16
	s_mul_hi_u32 s17, s22, s3
	s_add_i32 s16, s17, s16
	s_mul_i32 s17, s23, s3
	s_add_i32 s27, s16, s17
	s_mul_i32 s26, s22, s3
.LBB37_2:
	s_load_dwordx2 s[16:17], s[8:9], 0x0
	v_mov_b32_e32 v1, 0
	v_cmp_gt_i64_e64 s[8:9], s[14:15], v[0:1]
	s_and_saveexec_b64 s[24:25], s[8:9]
	s_cbranch_execz .LBB37_10
; %bb.3:
	s_load_dwordx2 s[28:29], s[28:29], 0x0
	v_mov_b32_e32 v3, -1
	v_not_b32_e32 v2, v0
	v_lshl_add_u64 v[2:3], s[14:15], 0, v[2:3]
	s_mov_b64 s[30:31], 0xff
	v_cmp_lt_u64_e32 vcc, s[30:31], v[2:3]
	s_mov_b64 s[34:35], -1
	v_mov_b64_e32 v[6:7], v[0:1]
	s_and_saveexec_b64 s[30:31], vcc
	s_cbranch_execz .LBB37_7
; %bb.4:
	s_lshl_b64 s[34:35], s[18:19], 2
	s_waitcnt lgkmcnt(0)
	s_add_u32 s3, s28, s34
	v_lshrrev_b64 v[2:3], 8, v[2:3]
	s_addc_u32 s21, s29, s35
	s_lshl_b64 s[34:35], s[26:27], 2
	v_lshl_add_u64 v[2:3], v[2:3], 0, 1
	s_add_u32 s34, s3, s34
	v_and_b32_e32 v4, -2, v2
	v_mov_b32_e32 v5, v3
	v_mov_b32_e32 v9, 0
	s_addc_u32 s35, s21, s35
	s_mov_b32 s3, s22
	s_mov_b32 s21, s23
	v_or_b32_e32 v6, 0x100, v0
	v_mov_b32_e32 v8, v0
	v_mov_b32_e32 v7, v9
	s_mov_b64 s[36:37], 0
	s_mov_b64 s[38:39], 0x200
	v_mov_b64_e32 v[10:11], v[4:5]
.LBB37_5:                               ; =>This Inner Loop Header: Depth=1
	v_mul_lo_u32 v18, v9, s22
	v_mul_lo_u32 v19, v8, s23
	v_mad_u64_u32 v[14:15], s[40:41], v8, s22, 0
	v_mul_lo_u32 v16, v7, s3
	v_mul_lo_u32 v17, v6, s21
	v_mad_u64_u32 v[12:13], s[40:41], v6, s3, 0
	v_add3_u32 v15, v15, v19, v18
	v_add3_u32 v13, v13, v17, v16
	v_lshl_add_u64 v[14:15], v[14:15], 2, s[34:35]
	v_lshl_add_u64 v[12:13], v[12:13], 2, s[34:35]
	flat_load_dword v16, v[14:15]
	flat_load_dword v17, v[12:13]
	v_lshl_add_u64 v[10:11], v[10:11], 0, -2
	v_cmp_eq_u64_e32 vcc, 0, v[10:11]
	v_lshlrev_b32_e32 v12, 2, v8
	v_lshlrev_b32_e32 v13, 2, v6
	v_lshl_add_u64 v[6:7], v[6:7], 0, s[38:39]
	v_lshl_add_u64 v[8:9], v[8:9], 0, s[38:39]
	s_or_b64 s[36:37], vcc, s[36:37]
	s_waitcnt vmcnt(0) lgkmcnt(0)
	ds_write_b32 v12, v16
	ds_write_b32 v13, v17
	s_andn2_b64 exec, exec, s[36:37]
	s_cbranch_execnz .LBB37_5
; %bb.6:
	s_or_b64 exec, exec, s[36:37]
	v_lshlrev_b64 v[6:7], 8, v[4:5]
	v_cmp_ne_u64_e32 vcc, v[2:3], v[4:5]
	v_or_b32_e32 v6, v6, v0
	s_orn2_b64 s[34:35], vcc, exec
.LBB37_7:
	s_or_b64 exec, exec, s[30:31]
	s_and_b64 exec, exec, s[34:35]
	s_cbranch_execz .LBB37_10
; %bb.8:
	s_lshl_b64 s[26:27], s[26:27], 2
	s_lshl_b64 s[18:19], s[18:19], 2
	s_waitcnt lgkmcnt(0)
	s_add_u32 s3, s28, s18
	s_addc_u32 s19, s29, s19
	v_mul_lo_u32 v4, v7, s22
	v_mul_lo_u32 v5, v6, s23
	v_mad_u64_u32 v[2:3], s[30:31], v6, s22, 0
	s_add_u32 s18, s3, s26
	v_add3_u32 v3, v3, v5, v4
	s_addc_u32 s19, s19, s27
	v_lshl_add_u64 v[2:3], v[2:3], 2, s[18:19]
	s_lshl_b64 s[18:19], s[22:23], 10
	v_lshlrev_b32_e32 v4, 2, v6
	s_mov_b64 s[22:23], 0
	s_mov_b64 s[26:27], 0x100
.LBB37_9:                               ; =>This Inner Loop Header: Depth=1
	flat_load_dword v5, v[2:3]
	v_lshl_add_u64 v[6:7], v[6:7], 0, s[26:27]
	v_cmp_le_i64_e32 vcc, s[14:15], v[6:7]
	v_lshl_add_u64 v[2:3], v[2:3], 0, s[18:19]
	s_or_b64 s[22:23], vcc, s[22:23]
	s_waitcnt vmcnt(0) lgkmcnt(0)
	ds_write_b32 v4, v5
	v_add_u32_e32 v4, 0x400, v4
	s_andn2_b64 exec, exec, s[22:23]
	s_cbranch_execnz .LBB37_9
.LBB37_10:
	s_or_b64 exec, exec, s[24:25]
	s_mov_b32 s21, 0
	v_mov_b64_e32 v[2:3], s[20:21]
	v_cmp_le_i64_e32 vcc, s[12:13], v[2:3]
	s_waitcnt lgkmcnt(0)
	s_barrier
	s_cbranch_vccnz .LBB37_30
; %bb.11:
	s_load_dwordx2 s[18:19], s[0:1], 0x50
	s_lshl_b64 s[22:23], s[10:11], 2
	s_add_u32 s26, s16, s22
	s_mul_i32 s0, s7, s2
	s_mul_hi_u32 s1, s6, s2
	s_addc_u32 s27, s17, s23
	s_add_i32 s1, s1, s0
	s_mul_i32 s0, s6, s2
	s_lshl_b64 s[0:1], s[0:1], 2
	s_add_u32 s0, s4, s0
	v_and_b32_e32 v2, 63, v0
	s_addc_u32 s1, s5, s1
	v_cmp_eq_u32_e64 s[4:5], 0, v2
	s_waitcnt lgkmcnt(0)
	v_mad_u64_u32 v[2:3], s[24:25], s18, v0, 0
	v_mov_b32_e32 v4, v3
	s_cmp_gt_i32 s14, 1
	v_mad_u64_u32 v[4:5], s[24:25], s19, v0, v[4:5]
	s_cselect_b64 s[10:11], -1, 0
	s_lshl_b32 s28, s18, 8
	s_lshl_b64 s[24:25], s[20:21], 2
	s_add_u32 s16, s16, s24
	s_addc_u32 s17, s17, s25
	s_add_u32 s16, s16, s22
	v_mbcnt_lo_u32_b32 v6, -1, 0
	v_mov_b32_e32 v3, v4
	s_addc_u32 s17, s17, s23
	v_mbcnt_hi_u32_b32 v15, -1, v6
	v_mov_b32_e32 v6, 0x80
	v_cmp_gt_i32_e64 s[2:3], s14, v0
	v_lshrrev_b32_e32 v10, 4, v0
	v_cmp_eq_u32_e64 s[6:7], 0, v0
	v_lshlrev_b32_e32 v11, 2, v0
	v_mul_lo_u32 v12, v0, s18
	v_lshl_add_u64 v[2:3], v[2:3], 2, s[16:17]
	s_lshl_b64 s[16:17], s[18:19], 10
	v_mov_b32_e32 v13, 0x2004
	v_mov_b32_e32 v14, 0
	s_mov_b64 s[18:19], 0x100
	v_mov_b64_e32 v[4:5], s[12:13]
	v_and_b32_e32 v16, 63, v15
	v_lshl_or_b32 v17, v15, 2, v6
	s_branch .LBB37_13
.LBB37_12:                              ;   in Loop: Header=BB37_13 Depth=1
	s_or_b64 exec, exec, s[12:13]
	s_add_u32 s20, s20, 64
	s_addc_u32 s21, s21, 0
	v_cmp_ge_i64_e32 vcc, s[20:21], v[4:5]
	v_lshl_add_u64 v[2:3], v[2:3], 0, s[18:19]
	s_cbranch_vccnz .LBB37_30
.LBB37_13:                              ; =>This Loop Header: Depth=1
                                        ;     Child Loop BB37_15 Depth 2
                                        ;     Child Loop BB37_29 Depth 2
	v_mov_b32_e32 v8, 0
	s_and_saveexec_b64 s[12:13], s[2:3]
	s_cbranch_execz .LBB37_17
; %bb.14:                               ;   in Loop: Header=BB37_13 Depth=1
	s_lshl_b64 s[22:23], s[20:21], 2
	s_add_u32 s22, s26, s22
	s_addc_u32 s23, s27, s23
	v_mov_b32_e32 v8, 0
	s_mov_b64 s[24:25], 0
	v_mov_b32_e32 v6, v12
	v_mov_b32_e32 v9, v11
	;; [unrolled: 1-line block ×3, first 2 shown]
.LBB37_15:                              ;   Parent Loop BB37_13 Depth=1
                                        ; =>  This Inner Loop Header: Depth=2
	v_ashrrev_i32_e32 v7, 31, v6
	v_lshl_add_u64 v[20:21], v[6:7], 2, s[22:23]
	flat_load_dword v7, v[20:21]
	ds_read_b32 v19, v9
	v_add_u32_e32 v18, 0x100, v18
	v_cmp_le_i32_e32 vcc, s14, v18
	v_add_u32_e32 v9, 0x400, v9
	v_add_u32_e32 v6, s28, v6
	s_or_b64 s[24:25], vcc, s[24:25]
	s_waitcnt vmcnt(0) lgkmcnt(0)
	v_fmac_f32_e32 v8, v19, v7
	s_andn2_b64 exec, exec, s[24:25]
	s_cbranch_execnz .LBB37_15
; %bb.16:                               ;   in Loop: Header=BB37_13 Depth=1
	s_or_b64 exec, exec, s[24:25]
.LBB37_17:                              ;   in Loop: Header=BB37_13 Depth=1
	s_or_b64 exec, exec, s[12:13]
	s_and_b64 vcc, exec, s[10:11]
	s_cbranch_vccz .LBB37_24
; %bb.18:                               ;   in Loop: Header=BB37_13 Depth=1
	v_cmp_ne_u32_e32 vcc, 63, v16
	s_nop 1
	v_addc_co_u32_e32 v6, vcc, 0, v15, vcc
	v_lshlrev_b32_e32 v6, 2, v6
	ds_bpermute_b32 v6, v6, v8
	v_cmp_gt_u32_e32 vcc, 62, v16
	s_waitcnt lgkmcnt(0)
	v_add_f32_e32 v6, v8, v6
	v_cndmask_b32_e64 v7, 0, 2, vcc
	v_add_lshl_u32 v7, v7, v15, 2
	ds_bpermute_b32 v7, v7, v6
	v_cmp_gt_u32_e32 vcc, 60, v16
	s_waitcnt lgkmcnt(0)
	v_add_f32_e32 v6, v6, v7
	v_cndmask_b32_e64 v9, 0, 4, vcc
	v_add_lshl_u32 v9, v9, v15, 2
	;; [unrolled: 6-line block ×4, first 2 shown]
	ds_bpermute_b32 v7, v7, v6
	s_waitcnt lgkmcnt(0)
	v_add_f32_e32 v6, v6, v7
	ds_bpermute_b32 v7, v17, v6
	s_waitcnt lgkmcnt(0)
	v_add_f32_e32 v7, v6, v7
	s_and_saveexec_b64 s[12:13], s[4:5]
; %bb.19:                               ;   in Loop: Header=BB37_13 Depth=1
	ds_write_b32 v10, v7 offset:8192
; %bb.20:                               ;   in Loop: Header=BB37_13 Depth=1
	s_or_b64 exec, exec, s[12:13]
	s_mov_b64 s[22:23], 0
	s_mov_b64 s[12:13], 0
	s_waitcnt lgkmcnt(0)
	s_barrier
                                        ; implicit-def: $vgpr6
	s_and_saveexec_b64 s[24:25], s[6:7]
	s_xor_b64 s[24:25], exec, s[24:25]
	s_cbranch_execz .LBB37_22
; %bb.21:                               ;   in Loop: Header=BB37_13 Depth=1
	ds_read2_b32 v[18:19], v13 offset1:1
	ds_read_b32 v6, v14 offset:8204
	s_mov_b64 s[12:13], exec
	s_waitcnt lgkmcnt(0)
	v_add_f32_e32 v7, v7, v18
	v_add_f32_e32 v7, v7, v19
	s_waitcnt lgkmcnt(0)
	v_add_f32_e32 v6, v7, v6
.LBB37_22:                              ;   in Loop: Header=BB37_13 Depth=1
	s_or_b64 exec, exec, s[24:25]
	s_and_b64 vcc, exec, s[22:23]
	s_cbranch_vccnz .LBB37_25
.LBB37_23:                              ;   in Loop: Header=BB37_13 Depth=1
	v_mov_b32_e32 v8, v6
	s_and_saveexec_b64 s[22:23], s[12:13]
	s_cbranch_execnz .LBB37_26
	s_branch .LBB37_27
.LBB37_24:                              ;   in Loop: Header=BB37_13 Depth=1
	s_mov_b64 s[12:13], 0
                                        ; implicit-def: $vgpr6
	s_cbranch_execz .LBB37_23
.LBB37_25:                              ;   in Loop: Header=BB37_13 Depth=1
	s_andn2_b64 s[12:13], s[12:13], exec
	s_and_b64 s[22:23], s[6:7], exec
	s_or_b64 s[12:13], s[12:13], s[22:23]
	s_and_saveexec_b64 s[22:23], s[12:13]
.LBB37_26:                              ;   in Loop: Header=BB37_13 Depth=1
	ds_write_b32 v14, v8 offset:8192
.LBB37_27:                              ;   in Loop: Header=BB37_13 Depth=1
	s_or_b64 exec, exec, s[22:23]
	s_waitcnt lgkmcnt(0)
	s_barrier
	s_and_saveexec_b64 s[12:13], s[8:9]
	s_cbranch_execz .LBB37_12
; %bb.28:                               ;   in Loop: Header=BB37_13 Depth=1
	global_load_dword v8, v14, s[0:1]
	ds_read_b32 v9, v14 offset:8192
	s_mov_b64 s[22:23], 0
	v_mov_b32_e32 v18, v11
	v_mov_b64_e32 v[6:7], v[2:3]
	s_waitcnt vmcnt(0) lgkmcnt(0)
	v_mul_f32_e64 v19, v9, -v8
	v_mov_b64_e32 v[8:9], v[0:1]
.LBB37_29:                              ;   Parent Loop BB37_13 Depth=1
                                        ; =>  This Inner Loop Header: Depth=2
	flat_load_dword v20, v[6:7]
	ds_read_b32 v21, v18
	v_lshl_add_u64 v[8:9], v[8:9], 0, s[18:19]
	v_cmp_le_i64_e32 vcc, s[14:15], v[8:9]
	s_or_b64 s[22:23], vcc, s[22:23]
	v_add_u32_e32 v18, 0x400, v18
	s_waitcnt vmcnt(0) lgkmcnt(0)
	v_fmac_f32_e32 v20, v19, v21
	flat_store_dword v[6:7], v20
	v_lshl_add_u64 v[6:7], v[6:7], 0, s[16:17]
	s_andn2_b64 exec, exec, s[22:23]
	s_cbranch_execnz .LBB37_29
	s_branch .LBB37_12
.LBB37_30:
	s_endpgm
	.section	.rodata,"a",@progbits
	.p2align	6, 0x0
	.amdhsa_kernel _ZN9rocsolver6v33100L23larf_right_kernel_smallILi256EflPKPfEEvT1_S5_T2_lS5_lPKT0_lS6_lS5_l
		.amdhsa_group_segment_fixed_size 8208
		.amdhsa_private_segment_fixed_size 0
		.amdhsa_kernarg_size 96
		.amdhsa_user_sgpr_count 2
		.amdhsa_user_sgpr_dispatch_ptr 0
		.amdhsa_user_sgpr_queue_ptr 0
		.amdhsa_user_sgpr_kernarg_segment_ptr 1
		.amdhsa_user_sgpr_dispatch_id 0
		.amdhsa_user_sgpr_kernarg_preload_length 0
		.amdhsa_user_sgpr_kernarg_preload_offset 0
		.amdhsa_user_sgpr_private_segment_size 0
		.amdhsa_uses_dynamic_stack 0
		.amdhsa_enable_private_segment 0
		.amdhsa_system_sgpr_workgroup_id_x 1
		.amdhsa_system_sgpr_workgroup_id_y 1
		.amdhsa_system_sgpr_workgroup_id_z 0
		.amdhsa_system_sgpr_workgroup_info 0
		.amdhsa_system_vgpr_workitem_id 0
		.amdhsa_next_free_vgpr 22
		.amdhsa_next_free_sgpr 42
		.amdhsa_accum_offset 24
		.amdhsa_reserve_vcc 1
		.amdhsa_float_round_mode_32 0
		.amdhsa_float_round_mode_16_64 0
		.amdhsa_float_denorm_mode_32 3
		.amdhsa_float_denorm_mode_16_64 3
		.amdhsa_dx10_clamp 1
		.amdhsa_ieee_mode 1
		.amdhsa_fp16_overflow 0
		.amdhsa_tg_split 0
		.amdhsa_exception_fp_ieee_invalid_op 0
		.amdhsa_exception_fp_denorm_src 0
		.amdhsa_exception_fp_ieee_div_zero 0
		.amdhsa_exception_fp_ieee_overflow 0
		.amdhsa_exception_fp_ieee_underflow 0
		.amdhsa_exception_fp_ieee_inexact 0
		.amdhsa_exception_int_div_zero 0
	.end_amdhsa_kernel
	.section	.text._ZN9rocsolver6v33100L23larf_right_kernel_smallILi256EflPKPfEEvT1_S5_T2_lS5_lPKT0_lS6_lS5_l,"axG",@progbits,_ZN9rocsolver6v33100L23larf_right_kernel_smallILi256EflPKPfEEvT1_S5_T2_lS5_lPKT0_lS6_lS5_l,comdat
.Lfunc_end37:
	.size	_ZN9rocsolver6v33100L23larf_right_kernel_smallILi256EflPKPfEEvT1_S5_T2_lS5_lPKT0_lS6_lS5_l, .Lfunc_end37-_ZN9rocsolver6v33100L23larf_right_kernel_smallILi256EflPKPfEEvT1_S5_T2_lS5_lPKT0_lS6_lS5_l
                                        ; -- End function
	.set _ZN9rocsolver6v33100L23larf_right_kernel_smallILi256EflPKPfEEvT1_S5_T2_lS5_lPKT0_lS6_lS5_l.num_vgpr, 22
	.set _ZN9rocsolver6v33100L23larf_right_kernel_smallILi256EflPKPfEEvT1_S5_T2_lS5_lPKT0_lS6_lS5_l.num_agpr, 0
	.set _ZN9rocsolver6v33100L23larf_right_kernel_smallILi256EflPKPfEEvT1_S5_T2_lS5_lPKT0_lS6_lS5_l.numbered_sgpr, 42
	.set _ZN9rocsolver6v33100L23larf_right_kernel_smallILi256EflPKPfEEvT1_S5_T2_lS5_lPKT0_lS6_lS5_l.num_named_barrier, 0
	.set _ZN9rocsolver6v33100L23larf_right_kernel_smallILi256EflPKPfEEvT1_S5_T2_lS5_lPKT0_lS6_lS5_l.private_seg_size, 0
	.set _ZN9rocsolver6v33100L23larf_right_kernel_smallILi256EflPKPfEEvT1_S5_T2_lS5_lPKT0_lS6_lS5_l.uses_vcc, 1
	.set _ZN9rocsolver6v33100L23larf_right_kernel_smallILi256EflPKPfEEvT1_S5_T2_lS5_lPKT0_lS6_lS5_l.uses_flat_scratch, 0
	.set _ZN9rocsolver6v33100L23larf_right_kernel_smallILi256EflPKPfEEvT1_S5_T2_lS5_lPKT0_lS6_lS5_l.has_dyn_sized_stack, 0
	.set _ZN9rocsolver6v33100L23larf_right_kernel_smallILi256EflPKPfEEvT1_S5_T2_lS5_lPKT0_lS6_lS5_l.has_recursion, 0
	.set _ZN9rocsolver6v33100L23larf_right_kernel_smallILi256EflPKPfEEvT1_S5_T2_lS5_lPKT0_lS6_lS5_l.has_indirect_call, 0
	.section	.AMDGPU.csdata,"",@progbits
; Kernel info:
; codeLenInByte = 1528
; TotalNumSgprs: 48
; NumVgprs: 22
; NumAgprs: 0
; TotalNumVgprs: 22
; ScratchSize: 0
; MemoryBound: 0
; FloatMode: 240
; IeeeMode: 1
; LDSByteSize: 8208 bytes/workgroup (compile time only)
; SGPRBlocks: 5
; VGPRBlocks: 2
; NumSGPRsForWavesPerEU: 48
; NumVGPRsForWavesPerEU: 22
; AccumOffset: 24
; Occupancy: 8
; WaveLimiterHint : 1
; COMPUTE_PGM_RSRC2:SCRATCH_EN: 0
; COMPUTE_PGM_RSRC2:USER_SGPR: 2
; COMPUTE_PGM_RSRC2:TRAP_HANDLER: 0
; COMPUTE_PGM_RSRC2:TGID_X_EN: 1
; COMPUTE_PGM_RSRC2:TGID_Y_EN: 1
; COMPUTE_PGM_RSRC2:TGID_Z_EN: 0
; COMPUTE_PGM_RSRC2:TIDIG_COMP_CNT: 0
; COMPUTE_PGM_RSRC3_GFX90A:ACCUM_OFFSET: 5
; COMPUTE_PGM_RSRC3_GFX90A:TG_SPLIT: 0
	.section	.text._ZN9rocsolver6v33100L23larf_right_kernel_smallILi512EflPKPfEEvT1_S5_T2_lS5_lPKT0_lS6_lS5_l,"axG",@progbits,_ZN9rocsolver6v33100L23larf_right_kernel_smallILi512EflPKPfEEvT1_S5_T2_lS5_lPKT0_lS6_lS5_l,comdat
	.globl	_ZN9rocsolver6v33100L23larf_right_kernel_smallILi512EflPKPfEEvT1_S5_T2_lS5_lPKT0_lS6_lS5_l ; -- Begin function _ZN9rocsolver6v33100L23larf_right_kernel_smallILi512EflPKPfEEvT1_S5_T2_lS5_lPKT0_lS6_lS5_l
	.p2align	8
	.type	_ZN9rocsolver6v33100L23larf_right_kernel_smallILi512EflPKPfEEvT1_S5_T2_lS5_lPKT0_lS6_lS5_l,@function
_ZN9rocsolver6v33100L23larf_right_kernel_smallILi512EflPKPfEEvT1_S5_T2_lS5_lPKT0_lS6_lS5_l: ; @_ZN9rocsolver6v33100L23larf_right_kernel_smallILi512EflPKPfEEvT1_S5_T2_lS5_lPKT0_lS6_lS5_l
; %bb.0:
	s_load_dwordx8 s[12:19], s[0:1], 0x0
	s_load_dwordx2 s[22:23], s[0:1], 0x20
	s_load_dwordx8 s[4:11], s[0:1], 0x30
	s_mov_b32 s20, s3
	s_mov_b32 s3, 0
	s_lshl_b64 s[24:25], s[2:3], 3
	s_waitcnt lgkmcnt(0)
	s_add_u32 s28, s16, s24
	s_addc_u32 s29, s17, s25
	s_add_u32 s8, s8, s24
	v_cmp_gt_i64_e64 s[16:17], s[22:23], 0
	s_addc_u32 s9, s9, s25
	s_mov_b64 s[26:27], 0
	s_and_b64 vcc, exec, s[16:17]
	s_cbranch_vccnz .LBB38_2
; %bb.1:
	s_sub_u32 s3, 1, s14
	s_subb_u32 s16, 0, s15
	s_mul_i32 s16, s22, s16
	s_mul_hi_u32 s17, s22, s3
	s_add_i32 s16, s17, s16
	s_mul_i32 s17, s23, s3
	s_add_i32 s27, s16, s17
	s_mul_i32 s26, s22, s3
.LBB38_2:
	s_load_dwordx2 s[16:17], s[8:9], 0x0
	v_mov_b32_e32 v1, 0
	v_cmp_gt_i64_e64 s[8:9], s[14:15], v[0:1]
	s_and_saveexec_b64 s[24:25], s[8:9]
	s_cbranch_execz .LBB38_10
; %bb.3:
	s_load_dwordx2 s[28:29], s[28:29], 0x0
	v_mov_b32_e32 v3, -1
	v_not_b32_e32 v2, v0
	v_lshl_add_u64 v[2:3], s[14:15], 0, v[2:3]
	s_mov_b64 s[30:31], 0x1ff
	v_cmp_lt_u64_e32 vcc, s[30:31], v[2:3]
	s_mov_b64 s[34:35], -1
	v_mov_b64_e32 v[6:7], v[0:1]
	s_and_saveexec_b64 s[30:31], vcc
	s_cbranch_execz .LBB38_7
; %bb.4:
	s_lshl_b64 s[34:35], s[18:19], 2
	s_waitcnt lgkmcnt(0)
	s_add_u32 s3, s28, s34
	v_lshrrev_b64 v[2:3], 9, v[2:3]
	s_addc_u32 s21, s29, s35
	s_lshl_b64 s[34:35], s[26:27], 2
	v_lshl_add_u64 v[2:3], v[2:3], 0, 1
	s_add_u32 s34, s3, s34
	v_and_b32_e32 v4, -2, v2
	v_mov_b32_e32 v5, v3
	v_mov_b32_e32 v9, 0
	s_addc_u32 s35, s21, s35
	s_mov_b32 s3, s22
	s_mov_b32 s21, s23
	v_or_b32_e32 v6, 0x200, v0
	v_mov_b32_e32 v8, v0
	v_mov_b32_e32 v7, v9
	s_mov_b64 s[36:37], 0
	s_mov_b64 s[38:39], 0x400
	v_mov_b64_e32 v[10:11], v[4:5]
.LBB38_5:                               ; =>This Inner Loop Header: Depth=1
	v_mul_lo_u32 v18, v9, s22
	v_mul_lo_u32 v19, v8, s23
	v_mad_u64_u32 v[14:15], s[40:41], v8, s22, 0
	v_mul_lo_u32 v16, v7, s3
	v_mul_lo_u32 v17, v6, s21
	v_mad_u64_u32 v[12:13], s[40:41], v6, s3, 0
	v_add3_u32 v15, v15, v19, v18
	v_add3_u32 v13, v13, v17, v16
	v_lshl_add_u64 v[14:15], v[14:15], 2, s[34:35]
	v_lshl_add_u64 v[12:13], v[12:13], 2, s[34:35]
	flat_load_dword v16, v[14:15]
	flat_load_dword v17, v[12:13]
	v_lshl_add_u64 v[10:11], v[10:11], 0, -2
	v_cmp_eq_u64_e32 vcc, 0, v[10:11]
	v_lshlrev_b32_e32 v12, 2, v8
	v_lshlrev_b32_e32 v13, 2, v6
	v_lshl_add_u64 v[6:7], v[6:7], 0, s[38:39]
	v_lshl_add_u64 v[8:9], v[8:9], 0, s[38:39]
	s_or_b64 s[36:37], vcc, s[36:37]
	s_waitcnt vmcnt(0) lgkmcnt(0)
	ds_write_b32 v12, v16
	ds_write_b32 v13, v17
	s_andn2_b64 exec, exec, s[36:37]
	s_cbranch_execnz .LBB38_5
; %bb.6:
	s_or_b64 exec, exec, s[36:37]
	v_lshlrev_b64 v[6:7], 9, v[4:5]
	v_cmp_ne_u64_e32 vcc, v[2:3], v[4:5]
	v_or_b32_e32 v6, v6, v0
	s_orn2_b64 s[34:35], vcc, exec
.LBB38_7:
	s_or_b64 exec, exec, s[30:31]
	s_and_b64 exec, exec, s[34:35]
	s_cbranch_execz .LBB38_10
; %bb.8:
	s_lshl_b64 s[26:27], s[26:27], 2
	s_lshl_b64 s[18:19], s[18:19], 2
	s_waitcnt lgkmcnt(0)
	s_add_u32 s3, s28, s18
	s_addc_u32 s19, s29, s19
	v_mul_lo_u32 v4, v7, s22
	v_mul_lo_u32 v5, v6, s23
	v_mad_u64_u32 v[2:3], s[30:31], v6, s22, 0
	s_add_u32 s18, s3, s26
	v_add3_u32 v3, v3, v5, v4
	s_addc_u32 s19, s19, s27
	v_lshl_add_u64 v[2:3], v[2:3], 2, s[18:19]
	s_lshl_b64 s[18:19], s[22:23], 11
	v_lshlrev_b32_e32 v4, 2, v6
	s_mov_b64 s[22:23], 0
	s_mov_b64 s[26:27], 0x200
.LBB38_9:                               ; =>This Inner Loop Header: Depth=1
	flat_load_dword v5, v[2:3]
	v_lshl_add_u64 v[6:7], v[6:7], 0, s[26:27]
	v_cmp_le_i64_e32 vcc, s[14:15], v[6:7]
	v_lshl_add_u64 v[2:3], v[2:3], 0, s[18:19]
	s_or_b64 s[22:23], vcc, s[22:23]
	s_waitcnt vmcnt(0) lgkmcnt(0)
	ds_write_b32 v4, v5
	v_add_u32_e32 v4, 0x800, v4
	s_andn2_b64 exec, exec, s[22:23]
	s_cbranch_execnz .LBB38_9
.LBB38_10:
	s_or_b64 exec, exec, s[24:25]
	s_mov_b32 s21, 0
	v_mov_b64_e32 v[2:3], s[20:21]
	v_cmp_le_i64_e32 vcc, s[12:13], v[2:3]
	s_waitcnt lgkmcnt(0)
	s_barrier
	s_cbranch_vccnz .LBB38_30
; %bb.11:
	s_load_dwordx2 s[18:19], s[0:1], 0x50
	s_lshl_b64 s[22:23], s[10:11], 2
	s_add_u32 s28, s16, s22
	s_mul_i32 s0, s7, s2
	s_mul_hi_u32 s1, s6, s2
	s_addc_u32 s29, s17, s23
	s_add_i32 s1, s1, s0
	s_mul_i32 s0, s6, s2
	s_lshl_b64 s[0:1], s[0:1], 2
	s_add_u32 s0, s4, s0
	v_and_b32_e32 v2, 63, v0
	s_addc_u32 s1, s5, s1
	v_cmp_eq_u32_e64 s[4:5], 0, v2
	s_waitcnt lgkmcnt(0)
	v_mad_u64_u32 v[2:3], s[24:25], s18, v0, 0
	v_mov_b32_e32 v4, v3
	s_cmp_gt_i32 s14, 1
	v_mad_u64_u32 v[4:5], s[24:25], s19, v0, v[4:5]
	s_cselect_b64 s[10:11], -1, 0
	s_lshl_b32 s30, s18, 9
	s_lshl_b64 s[24:25], s[20:21], 2
	s_add_u32 s16, s16, s24
	s_addc_u32 s17, s17, s25
	s_add_u32 s16, s16, s22
	v_mbcnt_lo_u32_b32 v6, -1, 0
	v_mov_b32_e32 v3, v4
	s_addc_u32 s17, s17, s23
	v_mbcnt_hi_u32_b32 v17, -1, v6
	v_mov_b32_e32 v6, 0x80
	v_cmp_gt_i32_e64 s[2:3], s14, v0
	v_lshrrev_b32_e32 v10, 4, v0
	v_cmp_eq_u32_e64 s[6:7], 0, v0
	v_lshlrev_b32_e32 v11, 2, v0
	v_mul_lo_u32 v12, v0, s18
	v_lshl_add_u64 v[2:3], v[2:3], 2, s[16:17]
	s_lshl_b64 s[16:17], s[18:19], 11
	v_mov_b32_e32 v13, 0x2004
	v_mov_b32_e32 v14, 0x200c
	;; [unrolled: 1-line block ×4, first 2 shown]
	s_mov_b64 s[18:19], 0x200
	s_mov_b64 s[22:23], 0x100
	v_mov_b64_e32 v[4:5], s[12:13]
	v_and_b32_e32 v18, 63, v17
	v_lshl_or_b32 v19, v17, 2, v6
	s_branch .LBB38_13
.LBB38_12:                              ;   in Loop: Header=BB38_13 Depth=1
	s_or_b64 exec, exec, s[12:13]
	s_add_u32 s20, s20, 64
	s_addc_u32 s21, s21, 0
	v_cmp_ge_i64_e32 vcc, s[20:21], v[4:5]
	v_lshl_add_u64 v[2:3], v[2:3], 0, s[22:23]
	s_cbranch_vccnz .LBB38_30
.LBB38_13:                              ; =>This Loop Header: Depth=1
                                        ;     Child Loop BB38_15 Depth 2
                                        ;     Child Loop BB38_29 Depth 2
	v_mov_b32_e32 v8, 0
	s_and_saveexec_b64 s[12:13], s[2:3]
	s_cbranch_execz .LBB38_17
; %bb.14:                               ;   in Loop: Header=BB38_13 Depth=1
	s_lshl_b64 s[24:25], s[20:21], 2
	s_add_u32 s24, s28, s24
	s_addc_u32 s25, s29, s25
	v_mov_b32_e32 v8, 0
	s_mov_b64 s[26:27], 0
	v_mov_b32_e32 v6, v12
	v_mov_b32_e32 v9, v11
	;; [unrolled: 1-line block ×3, first 2 shown]
.LBB38_15:                              ;   Parent Loop BB38_13 Depth=1
                                        ; =>  This Inner Loop Header: Depth=2
	v_ashrrev_i32_e32 v7, 31, v6
	v_lshl_add_u64 v[22:23], v[6:7], 2, s[24:25]
	flat_load_dword v7, v[22:23]
	ds_read_b32 v21, v9
	v_add_u32_e32 v20, 0x200, v20
	v_cmp_le_i32_e32 vcc, s14, v20
	v_add_u32_e32 v9, 0x800, v9
	v_add_u32_e32 v6, s30, v6
	s_or_b64 s[26:27], vcc, s[26:27]
	s_waitcnt vmcnt(0) lgkmcnt(0)
	v_fmac_f32_e32 v8, v21, v7
	s_andn2_b64 exec, exec, s[26:27]
	s_cbranch_execnz .LBB38_15
; %bb.16:                               ;   in Loop: Header=BB38_13 Depth=1
	s_or_b64 exec, exec, s[26:27]
.LBB38_17:                              ;   in Loop: Header=BB38_13 Depth=1
	s_or_b64 exec, exec, s[12:13]
	s_and_b64 vcc, exec, s[10:11]
	s_cbranch_vccz .LBB38_24
; %bb.18:                               ;   in Loop: Header=BB38_13 Depth=1
	v_cmp_ne_u32_e32 vcc, 63, v18
	s_nop 1
	v_addc_co_u32_e32 v6, vcc, 0, v17, vcc
	v_lshlrev_b32_e32 v6, 2, v6
	ds_bpermute_b32 v6, v6, v8
	v_cmp_gt_u32_e32 vcc, 62, v18
	s_waitcnt lgkmcnt(0)
	v_add_f32_e32 v6, v8, v6
	v_cndmask_b32_e64 v7, 0, 2, vcc
	v_add_lshl_u32 v7, v7, v17, 2
	ds_bpermute_b32 v7, v7, v6
	v_cmp_gt_u32_e32 vcc, 60, v18
	s_waitcnt lgkmcnt(0)
	v_add_f32_e32 v6, v6, v7
	v_cndmask_b32_e64 v9, 0, 4, vcc
	v_add_lshl_u32 v9, v9, v17, 2
	;; [unrolled: 6-line block ×4, first 2 shown]
	ds_bpermute_b32 v7, v7, v6
	s_waitcnt lgkmcnt(0)
	v_add_f32_e32 v6, v6, v7
	ds_bpermute_b32 v7, v19, v6
	s_waitcnt lgkmcnt(0)
	v_add_f32_e32 v6, v6, v7
	s_and_saveexec_b64 s[12:13], s[4:5]
; %bb.19:                               ;   in Loop: Header=BB38_13 Depth=1
	ds_write_b32 v10, v6 offset:8192
; %bb.20:                               ;   in Loop: Header=BB38_13 Depth=1
	s_or_b64 exec, exec, s[12:13]
	s_mov_b64 s[24:25], 0
	s_mov_b64 s[12:13], 0
	s_waitcnt lgkmcnt(0)
	s_barrier
                                        ; implicit-def: $vgpr7
	s_and_saveexec_b64 s[26:27], s[6:7]
	s_xor_b64 s[26:27], exec, s[26:27]
	s_cbranch_execz .LBB38_22
; %bb.21:                               ;   in Loop: Header=BB38_13 Depth=1
	ds_read2_b32 v[20:21], v13 offset1:1
	ds_read2_b32 v[22:23], v14 offset1:1
	;; [unrolled: 1-line block ×3, first 2 shown]
	ds_read_b32 v7, v16 offset:8220
	s_mov_b64 s[12:13], exec
	s_waitcnt lgkmcnt(0)
	v_add_f32_e32 v6, v6, v20
	v_add_f32_e32 v6, v6, v21
	s_waitcnt lgkmcnt(2)
	v_add_f32_e32 v6, v6, v22
	v_add_f32_e32 v6, v6, v23
	s_waitcnt lgkmcnt(1)
	v_add_f32_e32 v6, v6, v24
	v_add_f32_e32 v6, v6, v25
	s_waitcnt lgkmcnt(0)
	v_add_f32_e32 v7, v6, v7
.LBB38_22:                              ;   in Loop: Header=BB38_13 Depth=1
	s_or_b64 exec, exec, s[26:27]
	s_and_b64 vcc, exec, s[24:25]
	s_cbranch_vccnz .LBB38_25
.LBB38_23:                              ;   in Loop: Header=BB38_13 Depth=1
	v_mov_b32_e32 v8, v7
	s_and_saveexec_b64 s[24:25], s[12:13]
	s_cbranch_execnz .LBB38_26
	s_branch .LBB38_27
.LBB38_24:                              ;   in Loop: Header=BB38_13 Depth=1
	s_mov_b64 s[12:13], 0
                                        ; implicit-def: $vgpr7
	s_cbranch_execz .LBB38_23
.LBB38_25:                              ;   in Loop: Header=BB38_13 Depth=1
	s_andn2_b64 s[12:13], s[12:13], exec
	s_and_b64 s[24:25], s[6:7], exec
	s_or_b64 s[12:13], s[12:13], s[24:25]
	s_and_saveexec_b64 s[24:25], s[12:13]
.LBB38_26:                              ;   in Loop: Header=BB38_13 Depth=1
	ds_write_b32 v16, v8 offset:8192
.LBB38_27:                              ;   in Loop: Header=BB38_13 Depth=1
	s_or_b64 exec, exec, s[24:25]
	s_waitcnt lgkmcnt(0)
	s_barrier
	s_and_saveexec_b64 s[12:13], s[8:9]
	s_cbranch_execz .LBB38_12
; %bb.28:                               ;   in Loop: Header=BB38_13 Depth=1
	global_load_dword v8, v16, s[0:1]
	ds_read_b32 v9, v16 offset:8192
	s_mov_b64 s[24:25], 0
	v_mov_b32_e32 v20, v11
	v_mov_b64_e32 v[6:7], v[2:3]
	s_waitcnt vmcnt(0) lgkmcnt(0)
	v_mul_f32_e64 v21, v9, -v8
	v_mov_b64_e32 v[8:9], v[0:1]
.LBB38_29:                              ;   Parent Loop BB38_13 Depth=1
                                        ; =>  This Inner Loop Header: Depth=2
	flat_load_dword v22, v[6:7]
	ds_read_b32 v23, v20
	v_lshl_add_u64 v[8:9], v[8:9], 0, s[18:19]
	v_cmp_le_i64_e32 vcc, s[14:15], v[8:9]
	s_or_b64 s[24:25], vcc, s[24:25]
	v_add_u32_e32 v20, 0x800, v20
	s_waitcnt vmcnt(0) lgkmcnt(0)
	v_fmac_f32_e32 v22, v21, v23
	flat_store_dword v[6:7], v22
	v_lshl_add_u64 v[6:7], v[6:7], 0, s[16:17]
	s_andn2_b64 exec, exec, s[24:25]
	s_cbranch_execnz .LBB38_29
	s_branch .LBB38_12
.LBB38_30:
	s_endpgm
	.section	.rodata,"a",@progbits
	.p2align	6, 0x0
	.amdhsa_kernel _ZN9rocsolver6v33100L23larf_right_kernel_smallILi512EflPKPfEEvT1_S5_T2_lS5_lPKT0_lS6_lS5_l
		.amdhsa_group_segment_fixed_size 8224
		.amdhsa_private_segment_fixed_size 0
		.amdhsa_kernarg_size 96
		.amdhsa_user_sgpr_count 2
		.amdhsa_user_sgpr_dispatch_ptr 0
		.amdhsa_user_sgpr_queue_ptr 0
		.amdhsa_user_sgpr_kernarg_segment_ptr 1
		.amdhsa_user_sgpr_dispatch_id 0
		.amdhsa_user_sgpr_kernarg_preload_length 0
		.amdhsa_user_sgpr_kernarg_preload_offset 0
		.amdhsa_user_sgpr_private_segment_size 0
		.amdhsa_uses_dynamic_stack 0
		.amdhsa_enable_private_segment 0
		.amdhsa_system_sgpr_workgroup_id_x 1
		.amdhsa_system_sgpr_workgroup_id_y 1
		.amdhsa_system_sgpr_workgroup_id_z 0
		.amdhsa_system_sgpr_workgroup_info 0
		.amdhsa_system_vgpr_workitem_id 0
		.amdhsa_next_free_vgpr 26
		.amdhsa_next_free_sgpr 42
		.amdhsa_accum_offset 28
		.amdhsa_reserve_vcc 1
		.amdhsa_float_round_mode_32 0
		.amdhsa_float_round_mode_16_64 0
		.amdhsa_float_denorm_mode_32 3
		.amdhsa_float_denorm_mode_16_64 3
		.amdhsa_dx10_clamp 1
		.amdhsa_ieee_mode 1
		.amdhsa_fp16_overflow 0
		.amdhsa_tg_split 0
		.amdhsa_exception_fp_ieee_invalid_op 0
		.amdhsa_exception_fp_denorm_src 0
		.amdhsa_exception_fp_ieee_div_zero 0
		.amdhsa_exception_fp_ieee_overflow 0
		.amdhsa_exception_fp_ieee_underflow 0
		.amdhsa_exception_fp_ieee_inexact 0
		.amdhsa_exception_int_div_zero 0
	.end_amdhsa_kernel
	.section	.text._ZN9rocsolver6v33100L23larf_right_kernel_smallILi512EflPKPfEEvT1_S5_T2_lS5_lPKT0_lS6_lS5_l,"axG",@progbits,_ZN9rocsolver6v33100L23larf_right_kernel_smallILi512EflPKPfEEvT1_S5_T2_lS5_lPKT0_lS6_lS5_l,comdat
.Lfunc_end38:
	.size	_ZN9rocsolver6v33100L23larf_right_kernel_smallILi512EflPKPfEEvT1_S5_T2_lS5_lPKT0_lS6_lS5_l, .Lfunc_end38-_ZN9rocsolver6v33100L23larf_right_kernel_smallILi512EflPKPfEEvT1_S5_T2_lS5_lPKT0_lS6_lS5_l
                                        ; -- End function
	.set _ZN9rocsolver6v33100L23larf_right_kernel_smallILi512EflPKPfEEvT1_S5_T2_lS5_lPKT0_lS6_lS5_l.num_vgpr, 26
	.set _ZN9rocsolver6v33100L23larf_right_kernel_smallILi512EflPKPfEEvT1_S5_T2_lS5_lPKT0_lS6_lS5_l.num_agpr, 0
	.set _ZN9rocsolver6v33100L23larf_right_kernel_smallILi512EflPKPfEEvT1_S5_T2_lS5_lPKT0_lS6_lS5_l.numbered_sgpr, 42
	.set _ZN9rocsolver6v33100L23larf_right_kernel_smallILi512EflPKPfEEvT1_S5_T2_lS5_lPKT0_lS6_lS5_l.num_named_barrier, 0
	.set _ZN9rocsolver6v33100L23larf_right_kernel_smallILi512EflPKPfEEvT1_S5_T2_lS5_lPKT0_lS6_lS5_l.private_seg_size, 0
	.set _ZN9rocsolver6v33100L23larf_right_kernel_smallILi512EflPKPfEEvT1_S5_T2_lS5_lPKT0_lS6_lS5_l.uses_vcc, 1
	.set _ZN9rocsolver6v33100L23larf_right_kernel_smallILi512EflPKPfEEvT1_S5_T2_lS5_lPKT0_lS6_lS5_l.uses_flat_scratch, 0
	.set _ZN9rocsolver6v33100L23larf_right_kernel_smallILi512EflPKPfEEvT1_S5_T2_lS5_lPKT0_lS6_lS5_l.has_dyn_sized_stack, 0
	.set _ZN9rocsolver6v33100L23larf_right_kernel_smallILi512EflPKPfEEvT1_S5_T2_lS5_lPKT0_lS6_lS5_l.has_recursion, 0
	.set _ZN9rocsolver6v33100L23larf_right_kernel_smallILi512EflPKPfEEvT1_S5_T2_lS5_lPKT0_lS6_lS5_l.has_indirect_call, 0
	.section	.AMDGPU.csdata,"",@progbits
; Kernel info:
; codeLenInByte = 1592
; TotalNumSgprs: 48
; NumVgprs: 26
; NumAgprs: 0
; TotalNumVgprs: 26
; ScratchSize: 0
; MemoryBound: 0
; FloatMode: 240
; IeeeMode: 1
; LDSByteSize: 8224 bytes/workgroup (compile time only)
; SGPRBlocks: 5
; VGPRBlocks: 3
; NumSGPRsForWavesPerEU: 48
; NumVGPRsForWavesPerEU: 26
; AccumOffset: 28
; Occupancy: 8
; WaveLimiterHint : 1
; COMPUTE_PGM_RSRC2:SCRATCH_EN: 0
; COMPUTE_PGM_RSRC2:USER_SGPR: 2
; COMPUTE_PGM_RSRC2:TRAP_HANDLER: 0
; COMPUTE_PGM_RSRC2:TGID_X_EN: 1
; COMPUTE_PGM_RSRC2:TGID_Y_EN: 1
; COMPUTE_PGM_RSRC2:TGID_Z_EN: 0
; COMPUTE_PGM_RSRC2:TIDIG_COMP_CNT: 0
; COMPUTE_PGM_RSRC3_GFX90A:ACCUM_OFFSET: 6
; COMPUTE_PGM_RSRC3_GFX90A:TG_SPLIT: 0
	.section	.text._ZN9rocsolver6v33100L23larf_right_kernel_smallILi1024EflPKPfEEvT1_S5_T2_lS5_lPKT0_lS6_lS5_l,"axG",@progbits,_ZN9rocsolver6v33100L23larf_right_kernel_smallILi1024EflPKPfEEvT1_S5_T2_lS5_lPKT0_lS6_lS5_l,comdat
	.globl	_ZN9rocsolver6v33100L23larf_right_kernel_smallILi1024EflPKPfEEvT1_S5_T2_lS5_lPKT0_lS6_lS5_l ; -- Begin function _ZN9rocsolver6v33100L23larf_right_kernel_smallILi1024EflPKPfEEvT1_S5_T2_lS5_lPKT0_lS6_lS5_l
	.p2align	8
	.type	_ZN9rocsolver6v33100L23larf_right_kernel_smallILi1024EflPKPfEEvT1_S5_T2_lS5_lPKT0_lS6_lS5_l,@function
_ZN9rocsolver6v33100L23larf_right_kernel_smallILi1024EflPKPfEEvT1_S5_T2_lS5_lPKT0_lS6_lS5_l: ; @_ZN9rocsolver6v33100L23larf_right_kernel_smallILi1024EflPKPfEEvT1_S5_T2_lS5_lPKT0_lS6_lS5_l
; %bb.0:
	s_load_dwordx8 s[12:19], s[0:1], 0x0
	s_load_dwordx2 s[22:23], s[0:1], 0x20
	s_load_dwordx8 s[4:11], s[0:1], 0x30
	s_mov_b32 s20, s3
	s_mov_b32 s3, 0
	s_lshl_b64 s[24:25], s[2:3], 3
	s_waitcnt lgkmcnt(0)
	s_add_u32 s28, s16, s24
	s_addc_u32 s29, s17, s25
	s_add_u32 s8, s8, s24
	v_cmp_gt_i64_e64 s[16:17], s[22:23], 0
	s_addc_u32 s9, s9, s25
	s_mov_b64 s[26:27], 0
	s_and_b64 vcc, exec, s[16:17]
	s_cbranch_vccnz .LBB39_2
; %bb.1:
	s_sub_u32 s3, 1, s14
	s_subb_u32 s16, 0, s15
	s_mul_i32 s16, s22, s16
	s_mul_hi_u32 s17, s22, s3
	s_add_i32 s16, s17, s16
	s_mul_i32 s17, s23, s3
	s_add_i32 s27, s16, s17
	s_mul_i32 s26, s22, s3
.LBB39_2:
	s_load_dwordx2 s[16:17], s[8:9], 0x0
	v_mov_b32_e32 v1, 0
	v_cmp_gt_i64_e64 s[8:9], s[14:15], v[0:1]
	s_and_saveexec_b64 s[24:25], s[8:9]
	s_cbranch_execz .LBB39_10
; %bb.3:
	s_load_dwordx2 s[28:29], s[28:29], 0x0
	v_mov_b32_e32 v3, -1
	v_not_b32_e32 v2, v0
	v_lshl_add_u64 v[4:5], s[14:15], 0, v[2:3]
	s_mov_b64 s[30:31], 0x3ff
	v_cmp_lt_u64_e32 vcc, s[30:31], v[4:5]
	s_mov_b64 s[34:35], -1
	v_mov_b64_e32 v[2:3], v[0:1]
	s_and_saveexec_b64 s[30:31], vcc
	s_cbranch_execz .LBB39_7
; %bb.4:
	s_lshl_b64 s[34:35], s[18:19], 2
	s_waitcnt lgkmcnt(0)
	s_add_u32 s3, s28, s34
	v_lshrrev_b64 v[2:3], 10, v[4:5]
	s_addc_u32 s21, s29, s35
	s_lshl_b64 s[34:35], s[26:27], 2
	v_lshl_add_u64 v[6:7], v[2:3], 0, 1
	v_or_b32_e32 v2, 0x400, v0
	v_mov_b32_e32 v3, v1
	s_add_u32 s34, s3, s34
	v_and_b32_e32 v8, -2, v6
	v_mov_b32_e32 v9, v7
	v_mov_b64_e32 v[4:5], v[2:3]
	s_addc_u32 s35, s21, s35
	s_mov_b32 s3, s22
	s_mov_b32 s21, s23
	s_mov_b64 s[36:37], 0
	s_mov_b64 s[38:39], 0x800
	v_mov_b64_e32 v[10:11], v[8:9]
	v_mov_b64_e32 v[2:3], v[0:1]
.LBB39_5:                               ; =>This Inner Loop Header: Depth=1
	v_mul_lo_u32 v18, v3, s22
	v_mul_lo_u32 v19, v2, s23
	v_mad_u64_u32 v[14:15], s[40:41], v2, s22, 0
	v_mul_lo_u32 v16, v5, s3
	v_mul_lo_u32 v17, v4, s21
	v_mad_u64_u32 v[12:13], s[40:41], v4, s3, 0
	v_add3_u32 v15, v15, v19, v18
	v_add3_u32 v13, v13, v17, v16
	v_lshl_add_u64 v[14:15], v[14:15], 2, s[34:35]
	v_lshl_add_u64 v[12:13], v[12:13], 2, s[34:35]
	flat_load_dword v16, v[14:15]
	flat_load_dword v17, v[12:13]
	v_lshl_add_u64 v[10:11], v[10:11], 0, -2
	v_cmp_eq_u64_e32 vcc, 0, v[10:11]
	v_lshlrev_b32_e32 v12, 2, v2
	v_lshlrev_b32_e32 v13, 2, v4
	v_lshl_add_u64 v[4:5], v[4:5], 0, s[38:39]
	v_lshl_add_u64 v[2:3], v[2:3], 0, s[38:39]
	s_or_b64 s[36:37], vcc, s[36:37]
	s_waitcnt vmcnt(0) lgkmcnt(0)
	ds_write_b32 v12, v16
	ds_write_b32 v13, v17
	s_andn2_b64 exec, exec, s[36:37]
	s_cbranch_execnz .LBB39_5
; %bb.6:
	s_or_b64 exec, exec, s[36:37]
	v_lshlrev_b64 v[2:3], 10, v[8:9]
	v_cmp_ne_u64_e32 vcc, v[6:7], v[8:9]
	v_or_b32_e32 v2, v2, v0
	s_orn2_b64 s[34:35], vcc, exec
.LBB39_7:
	s_or_b64 exec, exec, s[30:31]
	s_and_b64 exec, exec, s[34:35]
	s_cbranch_execz .LBB39_10
; %bb.8:
	s_lshl_b64 s[26:27], s[26:27], 2
	s_lshl_b64 s[18:19], s[18:19], 2
	s_waitcnt lgkmcnt(0)
	s_add_u32 s3, s28, s18
	s_addc_u32 s19, s29, s19
	v_mul_lo_u32 v6, v3, s22
	v_mul_lo_u32 v7, v2, s23
	v_mad_u64_u32 v[4:5], s[30:31], v2, s22, 0
	s_add_u32 s18, s3, s26
	v_add3_u32 v5, v5, v7, v6
	s_addc_u32 s19, s19, s27
	v_lshl_add_u64 v[4:5], v[4:5], 2, s[18:19]
	s_lshl_b64 s[18:19], s[22:23], 12
	v_lshlrev_b32_e32 v6, 2, v2
	s_mov_b64 s[22:23], 0
	s_mov_b64 s[26:27], 0x400
.LBB39_9:                               ; =>This Inner Loop Header: Depth=1
	flat_load_dword v7, v[4:5]
	v_lshl_add_u64 v[2:3], v[2:3], 0, s[26:27]
	v_cmp_le_i64_e32 vcc, s[14:15], v[2:3]
	v_lshl_add_u64 v[4:5], v[4:5], 0, s[18:19]
	s_or_b64 s[22:23], vcc, s[22:23]
	s_waitcnt vmcnt(0) lgkmcnt(0)
	ds_write_b32 v6, v7
	v_add_u32_e32 v6, 0x1000, v6
	s_andn2_b64 exec, exec, s[22:23]
	s_cbranch_execnz .LBB39_9
.LBB39_10:
	s_or_b64 exec, exec, s[24:25]
	s_mov_b32 s21, 0
	v_mov_b64_e32 v[2:3], s[20:21]
	v_cmp_le_i64_e32 vcc, s[12:13], v[2:3]
	s_waitcnt lgkmcnt(0)
	s_barrier
	s_cbranch_vccnz .LBB39_30
; %bb.11:
	s_load_dwordx2 s[18:19], s[0:1], 0x50
	s_lshl_b64 s[22:23], s[10:11], 2
	s_add_u32 s28, s16, s22
	s_mul_i32 s0, s7, s2
	s_mul_hi_u32 s1, s6, s2
	s_addc_u32 s29, s17, s23
	s_add_i32 s1, s1, s0
	s_mul_i32 s0, s6, s2
	s_lshl_b64 s[0:1], s[0:1], 2
	s_add_u32 s0, s4, s0
	v_and_b32_e32 v2, 63, v0
	s_addc_u32 s1, s5, s1
	v_cmp_eq_u32_e64 s[4:5], 0, v2
	s_waitcnt lgkmcnt(0)
	v_mad_u64_u32 v[2:3], s[24:25], s18, v0, 0
	v_mov_b32_e32 v4, v3
	s_cmp_gt_i32 s14, 1
	v_mad_u64_u32 v[4:5], s[24:25], s19, v0, v[4:5]
	s_cselect_b64 s[10:11], -1, 0
	s_lshl_b32 s30, s18, 10
	s_lshl_b64 s[24:25], s[20:21], 2
	s_add_u32 s16, s16, s24
	s_addc_u32 s17, s17, s25
	s_add_u32 s16, s16, s22
	v_mbcnt_lo_u32_b32 v6, -1, 0
	v_mov_b32_e32 v3, v4
	s_addc_u32 s17, s17, s23
	v_mbcnt_hi_u32_b32 v21, -1, v6
	v_mov_b32_e32 v6, 0x80
	v_cmp_gt_i32_e64 s[2:3], s14, v0
	v_lshrrev_b32_e32 v10, 4, v0
	v_cmp_eq_u32_e64 s[6:7], 0, v0
	v_lshlrev_b32_e32 v11, 2, v0
	v_mul_lo_u32 v12, v0, s18
	v_lshl_add_u64 v[2:3], v[2:3], 2, s[16:17]
	s_lshl_b64 s[16:17], s[18:19], 12
	v_mov_b32_e32 v13, 0x2004
	v_mov_b32_e32 v14, 0x200c
	;; [unrolled: 1-line block ×8, first 2 shown]
	s_mov_b64 s[18:19], 0x400
	s_mov_b64 s[22:23], 0x100
	v_mov_b64_e32 v[4:5], s[12:13]
	v_and_b32_e32 v22, 63, v21
	v_lshl_or_b32 v23, v21, 2, v6
	s_branch .LBB39_13
.LBB39_12:                              ;   in Loop: Header=BB39_13 Depth=1
	s_or_b64 exec, exec, s[12:13]
	s_add_u32 s20, s20, 64
	s_addc_u32 s21, s21, 0
	v_cmp_ge_i64_e32 vcc, s[20:21], v[4:5]
	v_lshl_add_u64 v[2:3], v[2:3], 0, s[22:23]
	s_cbranch_vccnz .LBB39_30
.LBB39_13:                              ; =>This Loop Header: Depth=1
                                        ;     Child Loop BB39_15 Depth 2
                                        ;     Child Loop BB39_29 Depth 2
	v_mov_b32_e32 v8, 0
	s_and_saveexec_b64 s[12:13], s[2:3]
	s_cbranch_execz .LBB39_17
; %bb.14:                               ;   in Loop: Header=BB39_13 Depth=1
	s_lshl_b64 s[24:25], s[20:21], 2
	s_add_u32 s24, s28, s24
	s_addc_u32 s25, s29, s25
	v_mov_b32_e32 v8, 0
	s_mov_b64 s[26:27], 0
	v_mov_b32_e32 v6, v12
	v_mov_b32_e32 v9, v11
	;; [unrolled: 1-line block ×3, first 2 shown]
.LBB39_15:                              ;   Parent Loop BB39_13 Depth=1
                                        ; =>  This Inner Loop Header: Depth=2
	v_ashrrev_i32_e32 v7, 31, v6
	v_lshl_add_u64 v[26:27], v[6:7], 2, s[24:25]
	flat_load_dword v7, v[26:27]
	ds_read_b32 v25, v9
	v_add_u32_e32 v24, 0x400, v24
	v_cmp_le_i32_e32 vcc, s14, v24
	v_add_u32_e32 v9, 0x1000, v9
	v_add_u32_e32 v6, s30, v6
	s_or_b64 s[26:27], vcc, s[26:27]
	s_waitcnt vmcnt(0) lgkmcnt(0)
	v_fmac_f32_e32 v8, v25, v7
	s_andn2_b64 exec, exec, s[26:27]
	s_cbranch_execnz .LBB39_15
; %bb.16:                               ;   in Loop: Header=BB39_13 Depth=1
	s_or_b64 exec, exec, s[26:27]
.LBB39_17:                              ;   in Loop: Header=BB39_13 Depth=1
	s_or_b64 exec, exec, s[12:13]
	s_and_b64 vcc, exec, s[10:11]
	s_cbranch_vccz .LBB39_24
; %bb.18:                               ;   in Loop: Header=BB39_13 Depth=1
	v_cmp_ne_u32_e32 vcc, 63, v22
	s_nop 1
	v_addc_co_u32_e32 v6, vcc, 0, v21, vcc
	v_lshlrev_b32_e32 v6, 2, v6
	ds_bpermute_b32 v6, v6, v8
	v_cmp_gt_u32_e32 vcc, 62, v22
	s_waitcnt lgkmcnt(0)
	v_add_f32_e32 v6, v8, v6
	v_cndmask_b32_e64 v7, 0, 2, vcc
	v_add_lshl_u32 v7, v7, v21, 2
	ds_bpermute_b32 v7, v7, v6
	v_cmp_gt_u32_e32 vcc, 60, v22
	s_waitcnt lgkmcnt(0)
	v_add_f32_e32 v6, v6, v7
	v_cndmask_b32_e64 v9, 0, 4, vcc
	v_add_lshl_u32 v9, v9, v21, 2
	;; [unrolled: 6-line block ×4, first 2 shown]
	ds_bpermute_b32 v7, v7, v6
	s_waitcnt lgkmcnt(0)
	v_add_f32_e32 v6, v6, v7
	ds_bpermute_b32 v7, v23, v6
	s_waitcnt lgkmcnt(0)
	v_add_f32_e32 v6, v6, v7
	s_and_saveexec_b64 s[12:13], s[4:5]
; %bb.19:                               ;   in Loop: Header=BB39_13 Depth=1
	ds_write_b32 v10, v6 offset:8192
; %bb.20:                               ;   in Loop: Header=BB39_13 Depth=1
	s_or_b64 exec, exec, s[12:13]
	s_mov_b64 s[24:25], 0
	s_mov_b64 s[12:13], 0
	s_waitcnt lgkmcnt(0)
	s_barrier
                                        ; implicit-def: $vgpr7
	s_and_saveexec_b64 s[26:27], s[6:7]
	s_xor_b64 s[26:27], exec, s[26:27]
	s_cbranch_execz .LBB39_22
; %bb.21:                               ;   in Loop: Header=BB39_13 Depth=1
	ds_read2_b32 v[24:25], v13 offset1:1
	ds_read2_b32 v[26:27], v14 offset1:1
	;; [unrolled: 1-line block ×4, first 2 shown]
	s_mov_b64 s[12:13], exec
	s_waitcnt lgkmcnt(0)
	v_add_f32_e32 v6, v6, v24
	v_add_f32_e32 v6, v6, v25
	s_waitcnt lgkmcnt(2)
	v_add_f32_e32 v6, v6, v26
	v_add_f32_e32 v6, v6, v27
	;; [unrolled: 3-line block ×3, first 2 shown]
	s_waitcnt lgkmcnt(0)
	v_add_f32_e32 v9, v6, v30
	ds_read2_b32 v[6:7], v17 offset1:1
	v_add_f32_e32 v9, v9, v31
	ds_read2_b32 v[24:25], v18 offset1:1
	ds_read2_b32 v[26:27], v19 offset1:1
	ds_read_b32 v28, v20 offset:8252
	s_waitcnt lgkmcnt(0)
	v_add_f32_e32 v6, v9, v6
	v_add_f32_e32 v6, v6, v7
	s_waitcnt lgkmcnt(2)
	v_add_f32_e32 v6, v6, v24
	v_add_f32_e32 v6, v6, v25
	;; [unrolled: 3-line block ×3, first 2 shown]
	s_waitcnt lgkmcnt(0)
	v_add_f32_e32 v7, v6, v28
.LBB39_22:                              ;   in Loop: Header=BB39_13 Depth=1
	s_or_b64 exec, exec, s[26:27]
	s_and_b64 vcc, exec, s[24:25]
	s_cbranch_vccnz .LBB39_25
.LBB39_23:                              ;   in Loop: Header=BB39_13 Depth=1
	v_mov_b32_e32 v8, v7
	s_and_saveexec_b64 s[24:25], s[12:13]
	s_cbranch_execnz .LBB39_26
	s_branch .LBB39_27
.LBB39_24:                              ;   in Loop: Header=BB39_13 Depth=1
	s_mov_b64 s[12:13], 0
                                        ; implicit-def: $vgpr7
	s_cbranch_execz .LBB39_23
.LBB39_25:                              ;   in Loop: Header=BB39_13 Depth=1
	s_andn2_b64 s[12:13], s[12:13], exec
	s_and_b64 s[24:25], s[6:7], exec
	s_or_b64 s[12:13], s[12:13], s[24:25]
	s_and_saveexec_b64 s[24:25], s[12:13]
.LBB39_26:                              ;   in Loop: Header=BB39_13 Depth=1
	ds_write_b32 v20, v8 offset:8192
.LBB39_27:                              ;   in Loop: Header=BB39_13 Depth=1
	s_or_b64 exec, exec, s[24:25]
	s_waitcnt lgkmcnt(0)
	s_barrier
	s_and_saveexec_b64 s[12:13], s[8:9]
	s_cbranch_execz .LBB39_12
; %bb.28:                               ;   in Loop: Header=BB39_13 Depth=1
	global_load_dword v8, v20, s[0:1]
	ds_read_b32 v9, v20 offset:8192
	s_mov_b64 s[24:25], 0
	v_mov_b32_e32 v24, v11
	v_mov_b64_e32 v[6:7], v[2:3]
	s_waitcnt vmcnt(0) lgkmcnt(0)
	v_mul_f32_e64 v25, v9, -v8
	v_mov_b64_e32 v[8:9], v[0:1]
.LBB39_29:                              ;   Parent Loop BB39_13 Depth=1
                                        ; =>  This Inner Loop Header: Depth=2
	flat_load_dword v26, v[6:7]
	ds_read_b32 v27, v24
	v_lshl_add_u64 v[8:9], v[8:9], 0, s[18:19]
	v_cmp_le_i64_e32 vcc, s[14:15], v[8:9]
	s_or_b64 s[24:25], vcc, s[24:25]
	v_add_u32_e32 v24, 0x1000, v24
	s_waitcnt vmcnt(0) lgkmcnt(0)
	v_fmac_f32_e32 v26, v25, v27
	flat_store_dword v[6:7], v26
	v_lshl_add_u64 v[6:7], v[6:7], 0, s[16:17]
	s_andn2_b64 exec, exec, s[24:25]
	s_cbranch_execnz .LBB39_29
	s_branch .LBB39_12
.LBB39_30:
	s_endpgm
	.section	.rodata,"a",@progbits
	.p2align	6, 0x0
	.amdhsa_kernel _ZN9rocsolver6v33100L23larf_right_kernel_smallILi1024EflPKPfEEvT1_S5_T2_lS5_lPKT0_lS6_lS5_l
		.amdhsa_group_segment_fixed_size 8256
		.amdhsa_private_segment_fixed_size 0
		.amdhsa_kernarg_size 96
		.amdhsa_user_sgpr_count 2
		.amdhsa_user_sgpr_dispatch_ptr 0
		.amdhsa_user_sgpr_queue_ptr 0
		.amdhsa_user_sgpr_kernarg_segment_ptr 1
		.amdhsa_user_sgpr_dispatch_id 0
		.amdhsa_user_sgpr_kernarg_preload_length 0
		.amdhsa_user_sgpr_kernarg_preload_offset 0
		.amdhsa_user_sgpr_private_segment_size 0
		.amdhsa_uses_dynamic_stack 0
		.amdhsa_enable_private_segment 0
		.amdhsa_system_sgpr_workgroup_id_x 1
		.amdhsa_system_sgpr_workgroup_id_y 1
		.amdhsa_system_sgpr_workgroup_id_z 0
		.amdhsa_system_sgpr_workgroup_info 0
		.amdhsa_system_vgpr_workitem_id 0
		.amdhsa_next_free_vgpr 32
		.amdhsa_next_free_sgpr 42
		.amdhsa_accum_offset 32
		.amdhsa_reserve_vcc 1
		.amdhsa_float_round_mode_32 0
		.amdhsa_float_round_mode_16_64 0
		.amdhsa_float_denorm_mode_32 3
		.amdhsa_float_denorm_mode_16_64 3
		.amdhsa_dx10_clamp 1
		.amdhsa_ieee_mode 1
		.amdhsa_fp16_overflow 0
		.amdhsa_tg_split 0
		.amdhsa_exception_fp_ieee_invalid_op 0
		.amdhsa_exception_fp_denorm_src 0
		.amdhsa_exception_fp_ieee_div_zero 0
		.amdhsa_exception_fp_ieee_overflow 0
		.amdhsa_exception_fp_ieee_underflow 0
		.amdhsa_exception_fp_ieee_inexact 0
		.amdhsa_exception_int_div_zero 0
	.end_amdhsa_kernel
	.section	.text._ZN9rocsolver6v33100L23larf_right_kernel_smallILi1024EflPKPfEEvT1_S5_T2_lS5_lPKT0_lS6_lS5_l,"axG",@progbits,_ZN9rocsolver6v33100L23larf_right_kernel_smallILi1024EflPKPfEEvT1_S5_T2_lS5_lPKT0_lS6_lS5_l,comdat
.Lfunc_end39:
	.size	_ZN9rocsolver6v33100L23larf_right_kernel_smallILi1024EflPKPfEEvT1_S5_T2_lS5_lPKT0_lS6_lS5_l, .Lfunc_end39-_ZN9rocsolver6v33100L23larf_right_kernel_smallILi1024EflPKPfEEvT1_S5_T2_lS5_lPKT0_lS6_lS5_l
                                        ; -- End function
	.set _ZN9rocsolver6v33100L23larf_right_kernel_smallILi1024EflPKPfEEvT1_S5_T2_lS5_lPKT0_lS6_lS5_l.num_vgpr, 32
	.set _ZN9rocsolver6v33100L23larf_right_kernel_smallILi1024EflPKPfEEvT1_S5_T2_lS5_lPKT0_lS6_lS5_l.num_agpr, 0
	.set _ZN9rocsolver6v33100L23larf_right_kernel_smallILi1024EflPKPfEEvT1_S5_T2_lS5_lPKT0_lS6_lS5_l.numbered_sgpr, 42
	.set _ZN9rocsolver6v33100L23larf_right_kernel_smallILi1024EflPKPfEEvT1_S5_T2_lS5_lPKT0_lS6_lS5_l.num_named_barrier, 0
	.set _ZN9rocsolver6v33100L23larf_right_kernel_smallILi1024EflPKPfEEvT1_S5_T2_lS5_lPKT0_lS6_lS5_l.private_seg_size, 0
	.set _ZN9rocsolver6v33100L23larf_right_kernel_smallILi1024EflPKPfEEvT1_S5_T2_lS5_lPKT0_lS6_lS5_l.uses_vcc, 1
	.set _ZN9rocsolver6v33100L23larf_right_kernel_smallILi1024EflPKPfEEvT1_S5_T2_lS5_lPKT0_lS6_lS5_l.uses_flat_scratch, 0
	.set _ZN9rocsolver6v33100L23larf_right_kernel_smallILi1024EflPKPfEEvT1_S5_T2_lS5_lPKT0_lS6_lS5_l.has_dyn_sized_stack, 0
	.set _ZN9rocsolver6v33100L23larf_right_kernel_smallILi1024EflPKPfEEvT1_S5_T2_lS5_lPKT0_lS6_lS5_l.has_recursion, 0
	.set _ZN9rocsolver6v33100L23larf_right_kernel_smallILi1024EflPKPfEEvT1_S5_T2_lS5_lPKT0_lS6_lS5_l.has_indirect_call, 0
	.section	.AMDGPU.csdata,"",@progbits
; Kernel info:
; codeLenInByte = 1704
; TotalNumSgprs: 48
; NumVgprs: 32
; NumAgprs: 0
; TotalNumVgprs: 32
; ScratchSize: 0
; MemoryBound: 0
; FloatMode: 240
; IeeeMode: 1
; LDSByteSize: 8256 bytes/workgroup (compile time only)
; SGPRBlocks: 5
; VGPRBlocks: 3
; NumSGPRsForWavesPerEU: 48
; NumVGPRsForWavesPerEU: 32
; AccumOffset: 32
; Occupancy: 8
; WaveLimiterHint : 1
; COMPUTE_PGM_RSRC2:SCRATCH_EN: 0
; COMPUTE_PGM_RSRC2:USER_SGPR: 2
; COMPUTE_PGM_RSRC2:TRAP_HANDLER: 0
; COMPUTE_PGM_RSRC2:TGID_X_EN: 1
; COMPUTE_PGM_RSRC2:TGID_Y_EN: 1
; COMPUTE_PGM_RSRC2:TGID_Z_EN: 0
; COMPUTE_PGM_RSRC2:TIDIG_COMP_CNT: 0
; COMPUTE_PGM_RSRC3_GFX90A:ACCUM_OFFSET: 7
; COMPUTE_PGM_RSRC3_GFX90A:TG_SPLIT: 0
	.section	.AMDGPU.gpr_maximums,"",@progbits
	.set amdgpu.max_num_vgpr, 0
	.set amdgpu.max_num_agpr, 0
	.set amdgpu.max_num_sgpr, 0
	.section	.AMDGPU.csdata,"",@progbits
	.type	__hip_cuid_b79f1e251ceccf47,@object ; @__hip_cuid_b79f1e251ceccf47
	.section	.bss,"aw",@nobits
	.globl	__hip_cuid_b79f1e251ceccf47
__hip_cuid_b79f1e251ceccf47:
	.byte	0                               ; 0x0
	.size	__hip_cuid_b79f1e251ceccf47, 1

	.ident	"AMD clang version 22.0.0git (https://github.com/RadeonOpenCompute/llvm-project roc-7.2.4 26084 f58b06dce1f9c15707c5f808fd002e18c2accf7e)"
	.section	".note.GNU-stack","",@progbits
	.addrsig
	.addrsig_sym __hip_cuid_b79f1e251ceccf47
	.amdgpu_metadata
---
amdhsa.kernels:
  - .agpr_count:     0
    .args:
      - .offset:         0
        .size:           4
        .value_kind:     by_value
      - .offset:         4
        .size:           4
        .value_kind:     by_value
      - .address_space:  global
        .offset:         8
        .size:           8
        .value_kind:     global_buffer
      - .offset:         16
        .size:           8
        .value_kind:     by_value
      - .offset:         24
        .size:           4
        .value_kind:     by_value
      - .offset:         32
        .size:           8
        .value_kind:     by_value
      - .address_space:  global
        .offset:         40
        .size:           8
        .value_kind:     global_buffer
      - .offset:         48
        .size:           8
        .value_kind:     by_value
      - .address_space:  global
        .offset:         56
        .size:           8
        .value_kind:     global_buffer
      - .offset:         64
        .size:           8
        .value_kind:     by_value
      - .offset:         72
        .size:           4
        .value_kind:     by_value
      - .offset:         80
        .size:           8
        .value_kind:     by_value
    .group_segment_fixed_size: 8448
    .kernarg_segment_align: 8
    .kernarg_segment_size: 88
    .language:       OpenCL C
    .language_version:
      - 2
      - 0
    .max_flat_workgroup_size: 64
    .name:           _ZN9rocsolver6v33100L22larf_left_kernel_smallILi64EfiPfEEvT1_S3_T2_lS3_lPKT0_lS4_lS3_l
    .private_segment_fixed_size: 0
    .sgpr_count:     61
    .sgpr_spill_count: 0
    .symbol:         _ZN9rocsolver6v33100L22larf_left_kernel_smallILi64EfiPfEEvT1_S3_T2_lS3_lPKT0_lS4_lS3_l.kd
    .uniform_work_group_size: 1
    .uses_dynamic_stack: false
    .vgpr_count:     40
    .vgpr_spill_count: 0
    .wavefront_size: 64
  - .agpr_count:     0
    .args:
      - .offset:         0
        .size:           4
        .value_kind:     by_value
      - .offset:         4
        .size:           4
        .value_kind:     by_value
      - .address_space:  global
        .offset:         8
        .size:           8
        .value_kind:     global_buffer
      - .offset:         16
        .size:           8
        .value_kind:     by_value
      - .offset:         24
        .size:           4
        .value_kind:     by_value
      - .offset:         32
        .size:           8
        .value_kind:     by_value
      - .address_space:  global
        .offset:         40
        .size:           8
        .value_kind:     global_buffer
      - .offset:         48
        .size:           8
        .value_kind:     by_value
      - .address_space:  global
        .offset:         56
        .size:           8
        .value_kind:     global_buffer
      - .offset:         64
        .size:           8
        .value_kind:     by_value
      - .offset:         72
        .size:           4
        .value_kind:     by_value
      - .offset:         80
        .size:           8
        .value_kind:     by_value
    .group_segment_fixed_size: 8704
    .kernarg_segment_align: 8
    .kernarg_segment_size: 88
    .language:       OpenCL C
    .language_version:
      - 2
      - 0
    .max_flat_workgroup_size: 128
    .name:           _ZN9rocsolver6v33100L22larf_left_kernel_smallILi128EfiPfEEvT1_S3_T2_lS3_lPKT0_lS4_lS3_l
    .private_segment_fixed_size: 0
    .sgpr_count:     63
    .sgpr_spill_count: 0
    .symbol:         _ZN9rocsolver6v33100L22larf_left_kernel_smallILi128EfiPfEEvT1_S3_T2_lS3_lPKT0_lS4_lS3_l.kd
    .uniform_work_group_size: 1
    .uses_dynamic_stack: false
    .vgpr_count:     35
    .vgpr_spill_count: 0
    .wavefront_size: 64
  - .agpr_count:     0
    .args:
      - .offset:         0
        .size:           4
        .value_kind:     by_value
      - .offset:         4
        .size:           4
        .value_kind:     by_value
      - .address_space:  global
        .offset:         8
        .size:           8
        .value_kind:     global_buffer
      - .offset:         16
        .size:           8
        .value_kind:     by_value
      - .offset:         24
        .size:           4
        .value_kind:     by_value
      - .offset:         32
        .size:           8
        .value_kind:     by_value
      - .address_space:  global
        .offset:         40
        .size:           8
        .value_kind:     global_buffer
      - .offset:         48
        .size:           8
        .value_kind:     by_value
      - .address_space:  global
        .offset:         56
        .size:           8
        .value_kind:     global_buffer
      - .offset:         64
        .size:           8
        .value_kind:     by_value
      - .offset:         72
        .size:           4
        .value_kind:     by_value
      - .offset:         80
        .size:           8
        .value_kind:     by_value
    .group_segment_fixed_size: 9216
    .kernarg_segment_align: 8
    .kernarg_segment_size: 88
    .language:       OpenCL C
    .language_version:
      - 2
      - 0
    .max_flat_workgroup_size: 256
    .name:           _ZN9rocsolver6v33100L22larf_left_kernel_smallILi256EfiPfEEvT1_S3_T2_lS3_lPKT0_lS4_lS3_l
    .private_segment_fixed_size: 0
    .sgpr_count:     63
    .sgpr_spill_count: 0
    .symbol:         _ZN9rocsolver6v33100L22larf_left_kernel_smallILi256EfiPfEEvT1_S3_T2_lS3_lPKT0_lS4_lS3_l.kd
    .uniform_work_group_size: 1
    .uses_dynamic_stack: false
    .vgpr_count:     36
    .vgpr_spill_count: 0
    .wavefront_size: 64
  - .agpr_count:     0
    .args:
      - .offset:         0
        .size:           4
        .value_kind:     by_value
      - .offset:         4
        .size:           4
        .value_kind:     by_value
      - .address_space:  global
        .offset:         8
        .size:           8
        .value_kind:     global_buffer
      - .offset:         16
        .size:           8
        .value_kind:     by_value
      - .offset:         24
        .size:           4
        .value_kind:     by_value
      - .offset:         32
        .size:           8
        .value_kind:     by_value
      - .address_space:  global
        .offset:         40
        .size:           8
        .value_kind:     global_buffer
      - .offset:         48
        .size:           8
        .value_kind:     by_value
      - .address_space:  global
        .offset:         56
        .size:           8
        .value_kind:     global_buffer
      - .offset:         64
        .size:           8
        .value_kind:     by_value
      - .offset:         72
        .size:           4
        .value_kind:     by_value
      - .offset:         80
        .size:           8
        .value_kind:     by_value
    .group_segment_fixed_size: 10240
    .kernarg_segment_align: 8
    .kernarg_segment_size: 88
    .language:       OpenCL C
    .language_version:
      - 2
      - 0
    .max_flat_workgroup_size: 512
    .name:           _ZN9rocsolver6v33100L22larf_left_kernel_smallILi512EfiPfEEvT1_S3_T2_lS3_lPKT0_lS4_lS3_l
    .private_segment_fixed_size: 0
    .sgpr_count:     63
    .sgpr_spill_count: 0
    .symbol:         _ZN9rocsolver6v33100L22larf_left_kernel_smallILi512EfiPfEEvT1_S3_T2_lS3_lPKT0_lS4_lS3_l.kd
    .uniform_work_group_size: 1
    .uses_dynamic_stack: false
    .vgpr_count:     38
    .vgpr_spill_count: 0
    .wavefront_size: 64
  - .agpr_count:     0
    .args:
      - .offset:         0
        .size:           4
        .value_kind:     by_value
      - .offset:         4
        .size:           4
        .value_kind:     by_value
      - .address_space:  global
        .offset:         8
        .size:           8
        .value_kind:     global_buffer
      - .offset:         16
        .size:           8
        .value_kind:     by_value
      - .offset:         24
        .size:           4
        .value_kind:     by_value
      - .offset:         32
        .size:           8
        .value_kind:     by_value
      - .address_space:  global
        .offset:         40
        .size:           8
        .value_kind:     global_buffer
      - .offset:         48
        .size:           8
        .value_kind:     by_value
      - .address_space:  global
        .offset:         56
        .size:           8
        .value_kind:     global_buffer
      - .offset:         64
        .size:           8
        .value_kind:     by_value
      - .offset:         72
        .size:           4
        .value_kind:     by_value
      - .offset:         80
        .size:           8
        .value_kind:     by_value
    .group_segment_fixed_size: 12288
    .kernarg_segment_align: 8
    .kernarg_segment_size: 88
    .language:       OpenCL C
    .language_version:
      - 2
      - 0
    .max_flat_workgroup_size: 1024
    .name:           _ZN9rocsolver6v33100L22larf_left_kernel_smallILi1024EfiPfEEvT1_S3_T2_lS3_lPKT0_lS4_lS3_l
    .private_segment_fixed_size: 0
    .sgpr_count:     63
    .sgpr_spill_count: 0
    .symbol:         _ZN9rocsolver6v33100L22larf_left_kernel_smallILi1024EfiPfEEvT1_S3_T2_lS3_lPKT0_lS4_lS3_l.kd
    .uniform_work_group_size: 1
    .uses_dynamic_stack: false
    .vgpr_count:     42
    .vgpr_spill_count: 0
    .wavefront_size: 64
  - .agpr_count:     0
    .args:
      - .offset:         0
        .size:           4
        .value_kind:     by_value
      - .offset:         4
        .size:           4
        .value_kind:     by_value
      - .address_space:  global
        .offset:         8
        .size:           8
        .value_kind:     global_buffer
      - .offset:         16
        .size:           8
        .value_kind:     by_value
      - .offset:         24
        .size:           4
        .value_kind:     by_value
      - .offset:         32
        .size:           8
        .value_kind:     by_value
      - .address_space:  global
        .offset:         40
        .size:           8
        .value_kind:     global_buffer
      - .offset:         48
        .size:           8
        .value_kind:     by_value
      - .address_space:  global
        .offset:         56
        .size:           8
        .value_kind:     global_buffer
      - .offset:         64
        .size:           8
        .value_kind:     by_value
      - .offset:         72
        .size:           4
        .value_kind:     by_value
      - .offset:         80
        .size:           8
        .value_kind:     by_value
    .group_segment_fixed_size: 8196
    .kernarg_segment_align: 8
    .kernarg_segment_size: 88
    .language:       OpenCL C
    .language_version:
      - 2
      - 0
    .max_flat_workgroup_size: 64
    .name:           _ZN9rocsolver6v33100L23larf_right_kernel_smallILi64EfiPfEEvT1_S3_T2_lS3_lPKT0_lS4_lS3_l
    .private_segment_fixed_size: 0
    .sgpr_count:     40
    .sgpr_spill_count: 0
    .symbol:         _ZN9rocsolver6v33100L23larf_right_kernel_smallILi64EfiPfEEvT1_S3_T2_lS3_lPKT0_lS4_lS3_l.kd
    .uniform_work_group_size: 1
    .uses_dynamic_stack: false
    .vgpr_count:     31
    .vgpr_spill_count: 0
    .wavefront_size: 64
  - .agpr_count:     0
    .args:
      - .offset:         0
        .size:           4
        .value_kind:     by_value
      - .offset:         4
        .size:           4
        .value_kind:     by_value
      - .address_space:  global
        .offset:         8
        .size:           8
        .value_kind:     global_buffer
      - .offset:         16
        .size:           8
        .value_kind:     by_value
      - .offset:         24
        .size:           4
        .value_kind:     by_value
      - .offset:         32
        .size:           8
        .value_kind:     by_value
      - .address_space:  global
        .offset:         40
        .size:           8
        .value_kind:     global_buffer
      - .offset:         48
        .size:           8
        .value_kind:     by_value
      - .address_space:  global
        .offset:         56
        .size:           8
        .value_kind:     global_buffer
      - .offset:         64
        .size:           8
        .value_kind:     by_value
      - .offset:         72
        .size:           4
        .value_kind:     by_value
      - .offset:         80
        .size:           8
        .value_kind:     by_value
    .group_segment_fixed_size: 8200
    .kernarg_segment_align: 8
    .kernarg_segment_size: 88
    .language:       OpenCL C
    .language_version:
      - 2
      - 0
    .max_flat_workgroup_size: 128
    .name:           _ZN9rocsolver6v33100L23larf_right_kernel_smallILi128EfiPfEEvT1_S3_T2_lS3_lPKT0_lS4_lS3_l
    .private_segment_fixed_size: 0
    .sgpr_count:     40
    .sgpr_spill_count: 0
    .symbol:         _ZN9rocsolver6v33100L23larf_right_kernel_smallILi128EfiPfEEvT1_S3_T2_lS3_lPKT0_lS4_lS3_l.kd
    .uniform_work_group_size: 1
    .uses_dynamic_stack: false
    .vgpr_count:     31
    .vgpr_spill_count: 0
    .wavefront_size: 64
  - .agpr_count:     0
    .args:
      - .offset:         0
        .size:           4
        .value_kind:     by_value
      - .offset:         4
        .size:           4
        .value_kind:     by_value
      - .address_space:  global
        .offset:         8
        .size:           8
        .value_kind:     global_buffer
      - .offset:         16
        .size:           8
        .value_kind:     by_value
      - .offset:         24
        .size:           4
        .value_kind:     by_value
      - .offset:         32
        .size:           8
        .value_kind:     by_value
      - .address_space:  global
        .offset:         40
        .size:           8
        .value_kind:     global_buffer
      - .offset:         48
        .size:           8
        .value_kind:     by_value
      - .address_space:  global
        .offset:         56
        .size:           8
        .value_kind:     global_buffer
      - .offset:         64
        .size:           8
        .value_kind:     by_value
      - .offset:         72
        .size:           4
        .value_kind:     by_value
      - .offset:         80
        .size:           8
        .value_kind:     by_value
    .group_segment_fixed_size: 8208
    .kernarg_segment_align: 8
    .kernarg_segment_size: 88
    .language:       OpenCL C
    .language_version:
      - 2
      - 0
    .max_flat_workgroup_size: 256
    .name:           _ZN9rocsolver6v33100L23larf_right_kernel_smallILi256EfiPfEEvT1_S3_T2_lS3_lPKT0_lS4_lS3_l
    .private_segment_fixed_size: 0
    .sgpr_count:     40
    .sgpr_spill_count: 0
    .symbol:         _ZN9rocsolver6v33100L23larf_right_kernel_smallILi256EfiPfEEvT1_S3_T2_lS3_lPKT0_lS4_lS3_l.kd
    .uniform_work_group_size: 1
    .uses_dynamic_stack: false
    .vgpr_count:     31
    .vgpr_spill_count: 0
    .wavefront_size: 64
  - .agpr_count:     0
    .args:
      - .offset:         0
        .size:           4
        .value_kind:     by_value
      - .offset:         4
        .size:           4
        .value_kind:     by_value
      - .address_space:  global
        .offset:         8
        .size:           8
        .value_kind:     global_buffer
      - .offset:         16
        .size:           8
        .value_kind:     by_value
      - .offset:         24
        .size:           4
        .value_kind:     by_value
      - .offset:         32
        .size:           8
        .value_kind:     by_value
      - .address_space:  global
        .offset:         40
        .size:           8
        .value_kind:     global_buffer
      - .offset:         48
        .size:           8
        .value_kind:     by_value
      - .address_space:  global
        .offset:         56
        .size:           8
        .value_kind:     global_buffer
      - .offset:         64
        .size:           8
        .value_kind:     by_value
      - .offset:         72
        .size:           4
        .value_kind:     by_value
      - .offset:         80
        .size:           8
        .value_kind:     by_value
    .group_segment_fixed_size: 8224
    .kernarg_segment_align: 8
    .kernarg_segment_size: 88
    .language:       OpenCL C
    .language_version:
      - 2
      - 0
    .max_flat_workgroup_size: 512
    .name:           _ZN9rocsolver6v33100L23larf_right_kernel_smallILi512EfiPfEEvT1_S3_T2_lS3_lPKT0_lS4_lS3_l
    .private_segment_fixed_size: 0
    .sgpr_count:     40
    .sgpr_spill_count: 0
    .symbol:         _ZN9rocsolver6v33100L23larf_right_kernel_smallILi512EfiPfEEvT1_S3_T2_lS3_lPKT0_lS4_lS3_l.kd
    .uniform_work_group_size: 1
    .uses_dynamic_stack: false
    .vgpr_count:     31
    .vgpr_spill_count: 0
    .wavefront_size: 64
  - .agpr_count:     0
    .args:
      - .offset:         0
        .size:           4
        .value_kind:     by_value
      - .offset:         4
        .size:           4
        .value_kind:     by_value
      - .address_space:  global
        .offset:         8
        .size:           8
        .value_kind:     global_buffer
      - .offset:         16
        .size:           8
        .value_kind:     by_value
      - .offset:         24
        .size:           4
        .value_kind:     by_value
      - .offset:         32
        .size:           8
        .value_kind:     by_value
      - .address_space:  global
        .offset:         40
        .size:           8
        .value_kind:     global_buffer
      - .offset:         48
        .size:           8
        .value_kind:     by_value
      - .address_space:  global
        .offset:         56
        .size:           8
        .value_kind:     global_buffer
      - .offset:         64
        .size:           8
        .value_kind:     by_value
      - .offset:         72
        .size:           4
        .value_kind:     by_value
      - .offset:         80
        .size:           8
        .value_kind:     by_value
    .group_segment_fixed_size: 8256
    .kernarg_segment_align: 8
    .kernarg_segment_size: 88
    .language:       OpenCL C
    .language_version:
      - 2
      - 0
    .max_flat_workgroup_size: 1024
    .name:           _ZN9rocsolver6v33100L23larf_right_kernel_smallILi1024EfiPfEEvT1_S3_T2_lS3_lPKT0_lS4_lS3_l
    .private_segment_fixed_size: 0
    .sgpr_count:     40
    .sgpr_spill_count: 0
    .symbol:         _ZN9rocsolver6v33100L23larf_right_kernel_smallILi1024EfiPfEEvT1_S3_T2_lS3_lPKT0_lS4_lS3_l.kd
    .uniform_work_group_size: 1
    .uses_dynamic_stack: false
    .vgpr_count:     31
    .vgpr_spill_count: 0
    .wavefront_size: 64
  - .agpr_count:     0
    .args:
      - .offset:         0
        .size:           4
        .value_kind:     by_value
      - .offset:         4
        .size:           4
        .value_kind:     by_value
      - .address_space:  global
        .offset:         8
        .size:           8
        .value_kind:     global_buffer
      - .offset:         16
        .size:           8
        .value_kind:     by_value
      - .offset:         24
        .size:           4
        .value_kind:     by_value
      - .offset:         32
        .size:           8
        .value_kind:     by_value
      - .address_space:  global
        .offset:         40
        .size:           8
        .value_kind:     global_buffer
      - .offset:         48
        .size:           8
        .value_kind:     by_value
      - .address_space:  global
        .offset:         56
        .size:           8
        .value_kind:     global_buffer
      - .offset:         64
        .size:           8
        .value_kind:     by_value
      - .offset:         72
        .size:           4
        .value_kind:     by_value
      - .offset:         80
        .size:           8
        .value_kind:     by_value
    .group_segment_fixed_size: 8448
    .kernarg_segment_align: 8
    .kernarg_segment_size: 88
    .language:       OpenCL C
    .language_version:
      - 2
      - 0
    .max_flat_workgroup_size: 64
    .name:           _ZN9rocsolver6v33100L22larf_left_kernel_smallILi64EfiPKPfEEvT1_S5_T2_lS5_lPKT0_lS6_lS5_l
    .private_segment_fixed_size: 0
    .sgpr_count:     57
    .sgpr_spill_count: 0
    .symbol:         _ZN9rocsolver6v33100L22larf_left_kernel_smallILi64EfiPKPfEEvT1_S5_T2_lS5_lPKT0_lS6_lS5_l.kd
    .uniform_work_group_size: 1
    .uses_dynamic_stack: false
    .vgpr_count:     35
    .vgpr_spill_count: 0
    .wavefront_size: 64
  - .agpr_count:     0
    .args:
      - .offset:         0
        .size:           4
        .value_kind:     by_value
      - .offset:         4
        .size:           4
        .value_kind:     by_value
      - .address_space:  global
        .offset:         8
        .size:           8
        .value_kind:     global_buffer
      - .offset:         16
        .size:           8
        .value_kind:     by_value
      - .offset:         24
        .size:           4
        .value_kind:     by_value
      - .offset:         32
        .size:           8
        .value_kind:     by_value
      - .address_space:  global
        .offset:         40
        .size:           8
        .value_kind:     global_buffer
      - .offset:         48
        .size:           8
        .value_kind:     by_value
      - .address_space:  global
        .offset:         56
        .size:           8
        .value_kind:     global_buffer
      - .offset:         64
        .size:           8
        .value_kind:     by_value
      - .offset:         72
        .size:           4
        .value_kind:     by_value
      - .offset:         80
        .size:           8
        .value_kind:     by_value
    .group_segment_fixed_size: 8704
    .kernarg_segment_align: 8
    .kernarg_segment_size: 88
    .language:       OpenCL C
    .language_version:
      - 2
      - 0
    .max_flat_workgroup_size: 128
    .name:           _ZN9rocsolver6v33100L22larf_left_kernel_smallILi128EfiPKPfEEvT1_S5_T2_lS5_lPKT0_lS6_lS5_l
    .private_segment_fixed_size: 0
    .sgpr_count:     59
    .sgpr_spill_count: 0
    .symbol:         _ZN9rocsolver6v33100L22larf_left_kernel_smallILi128EfiPKPfEEvT1_S5_T2_lS5_lPKT0_lS6_lS5_l.kd
    .uniform_work_group_size: 1
    .uses_dynamic_stack: false
    .vgpr_count:     35
    .vgpr_spill_count: 0
    .wavefront_size: 64
  - .agpr_count:     0
    .args:
      - .offset:         0
        .size:           4
        .value_kind:     by_value
      - .offset:         4
        .size:           4
        .value_kind:     by_value
      - .address_space:  global
        .offset:         8
        .size:           8
        .value_kind:     global_buffer
      - .offset:         16
        .size:           8
        .value_kind:     by_value
      - .offset:         24
        .size:           4
        .value_kind:     by_value
      - .offset:         32
        .size:           8
        .value_kind:     by_value
      - .address_space:  global
        .offset:         40
        .size:           8
        .value_kind:     global_buffer
      - .offset:         48
        .size:           8
        .value_kind:     by_value
      - .address_space:  global
        .offset:         56
        .size:           8
        .value_kind:     global_buffer
      - .offset:         64
        .size:           8
        .value_kind:     by_value
      - .offset:         72
        .size:           4
        .value_kind:     by_value
      - .offset:         80
        .size:           8
        .value_kind:     by_value
    .group_segment_fixed_size: 9216
    .kernarg_segment_align: 8
    .kernarg_segment_size: 88
    .language:       OpenCL C
    .language_version:
      - 2
      - 0
    .max_flat_workgroup_size: 256
    .name:           _ZN9rocsolver6v33100L22larf_left_kernel_smallILi256EfiPKPfEEvT1_S5_T2_lS5_lPKT0_lS6_lS5_l
    .private_segment_fixed_size: 0
    .sgpr_count:     61
    .sgpr_spill_count: 0
    .symbol:         _ZN9rocsolver6v33100L22larf_left_kernel_smallILi256EfiPKPfEEvT1_S5_T2_lS5_lPKT0_lS6_lS5_l.kd
    .uniform_work_group_size: 1
    .uses_dynamic_stack: false
    .vgpr_count:     36
    .vgpr_spill_count: 0
    .wavefront_size: 64
  - .agpr_count:     0
    .args:
      - .offset:         0
        .size:           4
        .value_kind:     by_value
      - .offset:         4
        .size:           4
        .value_kind:     by_value
      - .address_space:  global
        .offset:         8
        .size:           8
        .value_kind:     global_buffer
      - .offset:         16
        .size:           8
        .value_kind:     by_value
      - .offset:         24
        .size:           4
        .value_kind:     by_value
      - .offset:         32
        .size:           8
        .value_kind:     by_value
      - .address_space:  global
        .offset:         40
        .size:           8
        .value_kind:     global_buffer
      - .offset:         48
        .size:           8
        .value_kind:     by_value
      - .address_space:  global
        .offset:         56
        .size:           8
        .value_kind:     global_buffer
      - .offset:         64
        .size:           8
        .value_kind:     by_value
      - .offset:         72
        .size:           4
        .value_kind:     by_value
      - .offset:         80
        .size:           8
        .value_kind:     by_value
    .group_segment_fixed_size: 10240
    .kernarg_segment_align: 8
    .kernarg_segment_size: 88
    .language:       OpenCL C
    .language_version:
      - 2
      - 0
    .max_flat_workgroup_size: 512
    .name:           _ZN9rocsolver6v33100L22larf_left_kernel_smallILi512EfiPKPfEEvT1_S5_T2_lS5_lPKT0_lS6_lS5_l
    .private_segment_fixed_size: 0
    .sgpr_count:     61
    .sgpr_spill_count: 0
    .symbol:         _ZN9rocsolver6v33100L22larf_left_kernel_smallILi512EfiPKPfEEvT1_S5_T2_lS5_lPKT0_lS6_lS5_l.kd
    .uniform_work_group_size: 1
    .uses_dynamic_stack: false
    .vgpr_count:     38
    .vgpr_spill_count: 0
    .wavefront_size: 64
  - .agpr_count:     0
    .args:
      - .offset:         0
        .size:           4
        .value_kind:     by_value
      - .offset:         4
        .size:           4
        .value_kind:     by_value
      - .address_space:  global
        .offset:         8
        .size:           8
        .value_kind:     global_buffer
      - .offset:         16
        .size:           8
        .value_kind:     by_value
      - .offset:         24
        .size:           4
        .value_kind:     by_value
      - .offset:         32
        .size:           8
        .value_kind:     by_value
      - .address_space:  global
        .offset:         40
        .size:           8
        .value_kind:     global_buffer
      - .offset:         48
        .size:           8
        .value_kind:     by_value
      - .address_space:  global
        .offset:         56
        .size:           8
        .value_kind:     global_buffer
      - .offset:         64
        .size:           8
        .value_kind:     by_value
      - .offset:         72
        .size:           4
        .value_kind:     by_value
      - .offset:         80
        .size:           8
        .value_kind:     by_value
    .group_segment_fixed_size: 12288
    .kernarg_segment_align: 8
    .kernarg_segment_size: 88
    .language:       OpenCL C
    .language_version:
      - 2
      - 0
    .max_flat_workgroup_size: 1024
    .name:           _ZN9rocsolver6v33100L22larf_left_kernel_smallILi1024EfiPKPfEEvT1_S5_T2_lS5_lPKT0_lS6_lS5_l
    .private_segment_fixed_size: 0
    .sgpr_count:     61
    .sgpr_spill_count: 0
    .symbol:         _ZN9rocsolver6v33100L22larf_left_kernel_smallILi1024EfiPKPfEEvT1_S5_T2_lS5_lPKT0_lS6_lS5_l.kd
    .uniform_work_group_size: 1
    .uses_dynamic_stack: false
    .vgpr_count:     42
    .vgpr_spill_count: 0
    .wavefront_size: 64
  - .agpr_count:     0
    .args:
      - .offset:         0
        .size:           4
        .value_kind:     by_value
      - .offset:         4
        .size:           4
        .value_kind:     by_value
      - .address_space:  global
        .offset:         8
        .size:           8
        .value_kind:     global_buffer
      - .offset:         16
        .size:           8
        .value_kind:     by_value
      - .offset:         24
        .size:           4
        .value_kind:     by_value
      - .offset:         32
        .size:           8
        .value_kind:     by_value
      - .address_space:  global
        .offset:         40
        .size:           8
        .value_kind:     global_buffer
      - .offset:         48
        .size:           8
        .value_kind:     by_value
      - .address_space:  global
        .offset:         56
        .size:           8
        .value_kind:     global_buffer
      - .offset:         64
        .size:           8
        .value_kind:     by_value
      - .offset:         72
        .size:           4
        .value_kind:     by_value
      - .offset:         80
        .size:           8
        .value_kind:     by_value
    .group_segment_fixed_size: 8196
    .kernarg_segment_align: 8
    .kernarg_segment_size: 88
    .language:       OpenCL C
    .language_version:
      - 2
      - 0
    .max_flat_workgroup_size: 64
    .name:           _ZN9rocsolver6v33100L23larf_right_kernel_smallILi64EfiPKPfEEvT1_S5_T2_lS5_lPKT0_lS6_lS5_l
    .private_segment_fixed_size: 0
    .sgpr_count:     40
    .sgpr_spill_count: 0
    .symbol:         _ZN9rocsolver6v33100L23larf_right_kernel_smallILi64EfiPKPfEEvT1_S5_T2_lS5_lPKT0_lS6_lS5_l.kd
    .uniform_work_group_size: 1
    .uses_dynamic_stack: false
    .vgpr_count:     16
    .vgpr_spill_count: 0
    .wavefront_size: 64
  - .agpr_count:     0
    .args:
      - .offset:         0
        .size:           4
        .value_kind:     by_value
      - .offset:         4
        .size:           4
        .value_kind:     by_value
      - .address_space:  global
        .offset:         8
        .size:           8
        .value_kind:     global_buffer
      - .offset:         16
        .size:           8
        .value_kind:     by_value
      - .offset:         24
        .size:           4
        .value_kind:     by_value
      - .offset:         32
        .size:           8
        .value_kind:     by_value
      - .address_space:  global
        .offset:         40
        .size:           8
        .value_kind:     global_buffer
      - .offset:         48
        .size:           8
        .value_kind:     by_value
      - .address_space:  global
        .offset:         56
        .size:           8
        .value_kind:     global_buffer
      - .offset:         64
        .size:           8
        .value_kind:     by_value
      - .offset:         72
        .size:           4
        .value_kind:     by_value
      - .offset:         80
        .size:           8
        .value_kind:     by_value
    .group_segment_fixed_size: 8200
    .kernarg_segment_align: 8
    .kernarg_segment_size: 88
    .language:       OpenCL C
    .language_version:
      - 2
      - 0
    .max_flat_workgroup_size: 128
    .name:           _ZN9rocsolver6v33100L23larf_right_kernel_smallILi128EfiPKPfEEvT1_S5_T2_lS5_lPKT0_lS6_lS5_l
    .private_segment_fixed_size: 0
    .sgpr_count:     40
    .sgpr_spill_count: 0
    .symbol:         _ZN9rocsolver6v33100L23larf_right_kernel_smallILi128EfiPKPfEEvT1_S5_T2_lS5_lPKT0_lS6_lS5_l.kd
    .uniform_work_group_size: 1
    .uses_dynamic_stack: false
    .vgpr_count:     16
    .vgpr_spill_count: 0
    .wavefront_size: 64
  - .agpr_count:     0
    .args:
      - .offset:         0
        .size:           4
        .value_kind:     by_value
      - .offset:         4
        .size:           4
        .value_kind:     by_value
      - .address_space:  global
        .offset:         8
        .size:           8
        .value_kind:     global_buffer
      - .offset:         16
        .size:           8
        .value_kind:     by_value
      - .offset:         24
        .size:           4
        .value_kind:     by_value
      - .offset:         32
        .size:           8
        .value_kind:     by_value
      - .address_space:  global
        .offset:         40
        .size:           8
        .value_kind:     global_buffer
      - .offset:         48
        .size:           8
        .value_kind:     by_value
      - .address_space:  global
        .offset:         56
        .size:           8
        .value_kind:     global_buffer
      - .offset:         64
        .size:           8
        .value_kind:     by_value
      - .offset:         72
        .size:           4
        .value_kind:     by_value
      - .offset:         80
        .size:           8
        .value_kind:     by_value
    .group_segment_fixed_size: 8208
    .kernarg_segment_align: 8
    .kernarg_segment_size: 88
    .language:       OpenCL C
    .language_version:
      - 2
      - 0
    .max_flat_workgroup_size: 256
    .name:           _ZN9rocsolver6v33100L23larf_right_kernel_smallILi256EfiPKPfEEvT1_S5_T2_lS5_lPKT0_lS6_lS5_l
    .private_segment_fixed_size: 0
    .sgpr_count:     40
    .sgpr_spill_count: 0
    .symbol:         _ZN9rocsolver6v33100L23larf_right_kernel_smallILi256EfiPKPfEEvT1_S5_T2_lS5_lPKT0_lS6_lS5_l.kd
    .uniform_work_group_size: 1
    .uses_dynamic_stack: false
    .vgpr_count:     17
    .vgpr_spill_count: 0
    .wavefront_size: 64
  - .agpr_count:     0
    .args:
      - .offset:         0
        .size:           4
        .value_kind:     by_value
      - .offset:         4
        .size:           4
        .value_kind:     by_value
      - .address_space:  global
        .offset:         8
        .size:           8
        .value_kind:     global_buffer
      - .offset:         16
        .size:           8
        .value_kind:     by_value
      - .offset:         24
        .size:           4
        .value_kind:     by_value
      - .offset:         32
        .size:           8
        .value_kind:     by_value
      - .address_space:  global
        .offset:         40
        .size:           8
        .value_kind:     global_buffer
      - .offset:         48
        .size:           8
        .value_kind:     by_value
      - .address_space:  global
        .offset:         56
        .size:           8
        .value_kind:     global_buffer
      - .offset:         64
        .size:           8
        .value_kind:     by_value
      - .offset:         72
        .size:           4
        .value_kind:     by_value
      - .offset:         80
        .size:           8
        .value_kind:     by_value
    .group_segment_fixed_size: 8224
    .kernarg_segment_align: 8
    .kernarg_segment_size: 88
    .language:       OpenCL C
    .language_version:
      - 2
      - 0
    .max_flat_workgroup_size: 512
    .name:           _ZN9rocsolver6v33100L23larf_right_kernel_smallILi512EfiPKPfEEvT1_S5_T2_lS5_lPKT0_lS6_lS5_l
    .private_segment_fixed_size: 0
    .sgpr_count:     40
    .sgpr_spill_count: 0
    .symbol:         _ZN9rocsolver6v33100L23larf_right_kernel_smallILi512EfiPKPfEEvT1_S5_T2_lS5_lPKT0_lS6_lS5_l.kd
    .uniform_work_group_size: 1
    .uses_dynamic_stack: false
    .vgpr_count:     20
    .vgpr_spill_count: 0
    .wavefront_size: 64
  - .agpr_count:     0
    .args:
      - .offset:         0
        .size:           4
        .value_kind:     by_value
      - .offset:         4
        .size:           4
        .value_kind:     by_value
      - .address_space:  global
        .offset:         8
        .size:           8
        .value_kind:     global_buffer
      - .offset:         16
        .size:           8
        .value_kind:     by_value
      - .offset:         24
        .size:           4
        .value_kind:     by_value
      - .offset:         32
        .size:           8
        .value_kind:     by_value
      - .address_space:  global
        .offset:         40
        .size:           8
        .value_kind:     global_buffer
      - .offset:         48
        .size:           8
        .value_kind:     by_value
      - .address_space:  global
        .offset:         56
        .size:           8
        .value_kind:     global_buffer
      - .offset:         64
        .size:           8
        .value_kind:     by_value
      - .offset:         72
        .size:           4
        .value_kind:     by_value
      - .offset:         80
        .size:           8
        .value_kind:     by_value
    .group_segment_fixed_size: 8256
    .kernarg_segment_align: 8
    .kernarg_segment_size: 88
    .language:       OpenCL C
    .language_version:
      - 2
      - 0
    .max_flat_workgroup_size: 1024
    .name:           _ZN9rocsolver6v33100L23larf_right_kernel_smallILi1024EfiPKPfEEvT1_S5_T2_lS5_lPKT0_lS6_lS5_l
    .private_segment_fixed_size: 0
    .sgpr_count:     40
    .sgpr_spill_count: 0
    .symbol:         _ZN9rocsolver6v33100L23larf_right_kernel_smallILi1024EfiPKPfEEvT1_S5_T2_lS5_lPKT0_lS6_lS5_l.kd
    .uniform_work_group_size: 1
    .uses_dynamic_stack: false
    .vgpr_count:     26
    .vgpr_spill_count: 0
    .wavefront_size: 64
  - .agpr_count:     0
    .args:
      - .offset:         0
        .size:           8
        .value_kind:     by_value
      - .offset:         8
        .size:           8
        .value_kind:     by_value
      - .address_space:  global
        .offset:         16
        .size:           8
        .value_kind:     global_buffer
      - .offset:         24
        .size:           8
        .value_kind:     by_value
      - .offset:         32
        .size:           8
        .value_kind:     by_value
      - .offset:         40
        .size:           8
        .value_kind:     by_value
      - .address_space:  global
        .offset:         48
        .size:           8
        .value_kind:     global_buffer
      - .offset:         56
        .size:           8
        .value_kind:     by_value
      - .address_space:  global
        .offset:         64
        .size:           8
        .value_kind:     global_buffer
      - .offset:         72
        .size:           8
        .value_kind:     by_value
      - .offset:         80
        .size:           8
        .value_kind:     by_value
      - .offset:         88
        .size:           8
        .value_kind:     by_value
    .group_segment_fixed_size: 8448
    .kernarg_segment_align: 8
    .kernarg_segment_size: 96
    .language:       OpenCL C
    .language_version:
      - 2
      - 0
    .max_flat_workgroup_size: 64
    .name:           _ZN9rocsolver6v33100L22larf_left_kernel_smallILi64EflPfEEvT1_S3_T2_lS3_lPKT0_lS4_lS3_l
    .private_segment_fixed_size: 0
    .sgpr_count:     52
    .sgpr_spill_count: 0
    .symbol:         _ZN9rocsolver6v33100L22larf_left_kernel_smallILi64EflPfEEvT1_S3_T2_lS3_lPKT0_lS4_lS3_l.kd
    .uniform_work_group_size: 1
    .uses_dynamic_stack: false
    .vgpr_count:     44
    .vgpr_spill_count: 0
    .wavefront_size: 64
  - .agpr_count:     0
    .args:
      - .offset:         0
        .size:           8
        .value_kind:     by_value
      - .offset:         8
        .size:           8
        .value_kind:     by_value
      - .address_space:  global
        .offset:         16
        .size:           8
        .value_kind:     global_buffer
      - .offset:         24
        .size:           8
        .value_kind:     by_value
      - .offset:         32
        .size:           8
        .value_kind:     by_value
      - .offset:         40
        .size:           8
        .value_kind:     by_value
      - .address_space:  global
        .offset:         48
        .size:           8
        .value_kind:     global_buffer
      - .offset:         56
        .size:           8
        .value_kind:     by_value
      - .address_space:  global
        .offset:         64
        .size:           8
        .value_kind:     global_buffer
      - .offset:         72
        .size:           8
        .value_kind:     by_value
      - .offset:         80
        .size:           8
        .value_kind:     by_value
      - .offset:         88
        .size:           8
        .value_kind:     by_value
    .group_segment_fixed_size: 8704
    .kernarg_segment_align: 8
    .kernarg_segment_size: 96
    .language:       OpenCL C
    .language_version:
      - 2
      - 0
    .max_flat_workgroup_size: 128
    .name:           _ZN9rocsolver6v33100L22larf_left_kernel_smallILi128EflPfEEvT1_S3_T2_lS3_lPKT0_lS4_lS3_l
    .private_segment_fixed_size: 0
    .sgpr_count:     56
    .sgpr_spill_count: 0
    .symbol:         _ZN9rocsolver6v33100L22larf_left_kernel_smallILi128EflPfEEvT1_S3_T2_lS3_lPKT0_lS4_lS3_l.kd
    .uniform_work_group_size: 1
    .uses_dynamic_stack: false
    .vgpr_count:     44
    .vgpr_spill_count: 0
    .wavefront_size: 64
  - .agpr_count:     0
    .args:
      - .offset:         0
        .size:           8
        .value_kind:     by_value
      - .offset:         8
        .size:           8
        .value_kind:     by_value
      - .address_space:  global
        .offset:         16
        .size:           8
        .value_kind:     global_buffer
      - .offset:         24
        .size:           8
        .value_kind:     by_value
      - .offset:         32
        .size:           8
        .value_kind:     by_value
      - .offset:         40
        .size:           8
        .value_kind:     by_value
      - .address_space:  global
        .offset:         48
        .size:           8
        .value_kind:     global_buffer
      - .offset:         56
        .size:           8
        .value_kind:     by_value
      - .address_space:  global
        .offset:         64
        .size:           8
        .value_kind:     global_buffer
      - .offset:         72
        .size:           8
        .value_kind:     by_value
      - .offset:         80
        .size:           8
        .value_kind:     by_value
      - .offset:         88
        .size:           8
        .value_kind:     by_value
    .group_segment_fixed_size: 9216
    .kernarg_segment_align: 8
    .kernarg_segment_size: 96
    .language:       OpenCL C
    .language_version:
      - 2
      - 0
    .max_flat_workgroup_size: 256
    .name:           _ZN9rocsolver6v33100L22larf_left_kernel_smallILi256EflPfEEvT1_S3_T2_lS3_lPKT0_lS4_lS3_l
    .private_segment_fixed_size: 0
    .sgpr_count:     56
    .sgpr_spill_count: 0
    .symbol:         _ZN9rocsolver6v33100L22larf_left_kernel_smallILi256EflPfEEvT1_S3_T2_lS3_lPKT0_lS4_lS3_l.kd
    .uniform_work_group_size: 1
    .uses_dynamic_stack: false
    .vgpr_count:     44
    .vgpr_spill_count: 0
    .wavefront_size: 64
  - .agpr_count:     0
    .args:
      - .offset:         0
        .size:           8
        .value_kind:     by_value
      - .offset:         8
        .size:           8
        .value_kind:     by_value
      - .address_space:  global
        .offset:         16
        .size:           8
        .value_kind:     global_buffer
      - .offset:         24
        .size:           8
        .value_kind:     by_value
      - .offset:         32
        .size:           8
        .value_kind:     by_value
      - .offset:         40
        .size:           8
        .value_kind:     by_value
      - .address_space:  global
        .offset:         48
        .size:           8
        .value_kind:     global_buffer
      - .offset:         56
        .size:           8
        .value_kind:     by_value
      - .address_space:  global
        .offset:         64
        .size:           8
        .value_kind:     global_buffer
      - .offset:         72
        .size:           8
        .value_kind:     by_value
      - .offset:         80
        .size:           8
        .value_kind:     by_value
      - .offset:         88
        .size:           8
        .value_kind:     by_value
    .group_segment_fixed_size: 10240
    .kernarg_segment_align: 8
    .kernarg_segment_size: 96
    .language:       OpenCL C
    .language_version:
      - 2
      - 0
    .max_flat_workgroup_size: 512
    .name:           _ZN9rocsolver6v33100L22larf_left_kernel_smallILi512EflPfEEvT1_S3_T2_lS3_lPKT0_lS4_lS3_l
    .private_segment_fixed_size: 0
    .sgpr_count:     56
    .sgpr_spill_count: 0
    .symbol:         _ZN9rocsolver6v33100L22larf_left_kernel_smallILi512EflPfEEvT1_S3_T2_lS3_lPKT0_lS4_lS3_l.kd
    .uniform_work_group_size: 1
    .uses_dynamic_stack: false
    .vgpr_count:     46
    .vgpr_spill_count: 0
    .wavefront_size: 64
  - .agpr_count:     0
    .args:
      - .offset:         0
        .size:           8
        .value_kind:     by_value
      - .offset:         8
        .size:           8
        .value_kind:     by_value
      - .address_space:  global
        .offset:         16
        .size:           8
        .value_kind:     global_buffer
      - .offset:         24
        .size:           8
        .value_kind:     by_value
      - .offset:         32
        .size:           8
        .value_kind:     by_value
      - .offset:         40
        .size:           8
        .value_kind:     by_value
      - .address_space:  global
        .offset:         48
        .size:           8
        .value_kind:     global_buffer
      - .offset:         56
        .size:           8
        .value_kind:     by_value
      - .address_space:  global
        .offset:         64
        .size:           8
        .value_kind:     global_buffer
      - .offset:         72
        .size:           8
        .value_kind:     by_value
      - .offset:         80
        .size:           8
        .value_kind:     by_value
      - .offset:         88
        .size:           8
        .value_kind:     by_value
    .group_segment_fixed_size: 12288
    .kernarg_segment_align: 8
    .kernarg_segment_size: 96
    .language:       OpenCL C
    .language_version:
      - 2
      - 0
    .max_flat_workgroup_size: 1024
    .name:           _ZN9rocsolver6v33100L22larf_left_kernel_smallILi1024EflPfEEvT1_S3_T2_lS3_lPKT0_lS4_lS3_l
    .private_segment_fixed_size: 0
    .sgpr_count:     56
    .sgpr_spill_count: 0
    .symbol:         _ZN9rocsolver6v33100L22larf_left_kernel_smallILi1024EflPfEEvT1_S3_T2_lS3_lPKT0_lS4_lS3_l.kd
    .uniform_work_group_size: 1
    .uses_dynamic_stack: false
    .vgpr_count:     48
    .vgpr_spill_count: 0
    .wavefront_size: 64
  - .agpr_count:     0
    .args:
      - .offset:         0
        .size:           8
        .value_kind:     by_value
      - .offset:         8
        .size:           8
        .value_kind:     by_value
      - .address_space:  global
        .offset:         16
        .size:           8
        .value_kind:     global_buffer
      - .offset:         24
        .size:           8
        .value_kind:     by_value
      - .offset:         32
        .size:           8
        .value_kind:     by_value
      - .offset:         40
        .size:           8
        .value_kind:     by_value
      - .address_space:  global
        .offset:         48
        .size:           8
        .value_kind:     global_buffer
      - .offset:         56
        .size:           8
        .value_kind:     by_value
      - .address_space:  global
        .offset:         64
        .size:           8
        .value_kind:     global_buffer
      - .offset:         72
        .size:           8
        .value_kind:     by_value
      - .offset:         80
        .size:           8
        .value_kind:     by_value
      - .offset:         88
        .size:           8
        .value_kind:     by_value
    .group_segment_fixed_size: 8196
    .kernarg_segment_align: 8
    .kernarg_segment_size: 96
    .language:       OpenCL C
    .language_version:
      - 2
      - 0
    .max_flat_workgroup_size: 64
    .name:           _ZN9rocsolver6v33100L23larf_right_kernel_smallILi64EflPfEEvT1_S3_T2_lS3_lPKT0_lS4_lS3_l
    .private_segment_fixed_size: 0
    .sgpr_count:     46
    .sgpr_spill_count: 0
    .symbol:         _ZN9rocsolver6v33100L23larf_right_kernel_smallILi64EflPfEEvT1_S3_T2_lS3_lPKT0_lS4_lS3_l.kd
    .uniform_work_group_size: 1
    .uses_dynamic_stack: false
    .vgpr_count:     21
    .vgpr_spill_count: 0
    .wavefront_size: 64
  - .agpr_count:     0
    .args:
      - .offset:         0
        .size:           8
        .value_kind:     by_value
      - .offset:         8
        .size:           8
        .value_kind:     by_value
      - .address_space:  global
        .offset:         16
        .size:           8
        .value_kind:     global_buffer
      - .offset:         24
        .size:           8
        .value_kind:     by_value
      - .offset:         32
        .size:           8
        .value_kind:     by_value
      - .offset:         40
        .size:           8
        .value_kind:     by_value
      - .address_space:  global
        .offset:         48
        .size:           8
        .value_kind:     global_buffer
      - .offset:         56
        .size:           8
        .value_kind:     by_value
      - .address_space:  global
        .offset:         64
        .size:           8
        .value_kind:     global_buffer
      - .offset:         72
        .size:           8
        .value_kind:     by_value
      - .offset:         80
        .size:           8
        .value_kind:     by_value
      - .offset:         88
        .size:           8
        .value_kind:     by_value
    .group_segment_fixed_size: 8200
    .kernarg_segment_align: 8
    .kernarg_segment_size: 96
    .language:       OpenCL C
    .language_version:
      - 2
      - 0
    .max_flat_workgroup_size: 128
    .name:           _ZN9rocsolver6v33100L23larf_right_kernel_smallILi128EflPfEEvT1_S3_T2_lS3_lPKT0_lS4_lS3_l
    .private_segment_fixed_size: 0
    .sgpr_count:     46
    .sgpr_spill_count: 0
    .symbol:         _ZN9rocsolver6v33100L23larf_right_kernel_smallILi128EflPfEEvT1_S3_T2_lS3_lPKT0_lS4_lS3_l.kd
    .uniform_work_group_size: 1
    .uses_dynamic_stack: false
    .vgpr_count:     21
    .vgpr_spill_count: 0
    .wavefront_size: 64
  - .agpr_count:     0
    .args:
      - .offset:         0
        .size:           8
        .value_kind:     by_value
      - .offset:         8
        .size:           8
        .value_kind:     by_value
      - .address_space:  global
        .offset:         16
        .size:           8
        .value_kind:     global_buffer
      - .offset:         24
        .size:           8
        .value_kind:     by_value
      - .offset:         32
        .size:           8
        .value_kind:     by_value
      - .offset:         40
        .size:           8
        .value_kind:     by_value
      - .address_space:  global
        .offset:         48
        .size:           8
        .value_kind:     global_buffer
      - .offset:         56
        .size:           8
        .value_kind:     by_value
      - .address_space:  global
        .offset:         64
        .size:           8
        .value_kind:     global_buffer
      - .offset:         72
        .size:           8
        .value_kind:     by_value
      - .offset:         80
        .size:           8
        .value_kind:     by_value
      - .offset:         88
        .size:           8
        .value_kind:     by_value
    .group_segment_fixed_size: 8208
    .kernarg_segment_align: 8
    .kernarg_segment_size: 96
    .language:       OpenCL C
    .language_version:
      - 2
      - 0
    .max_flat_workgroup_size: 256
    .name:           _ZN9rocsolver6v33100L23larf_right_kernel_smallILi256EflPfEEvT1_S3_T2_lS3_lPKT0_lS4_lS3_l
    .private_segment_fixed_size: 0
    .sgpr_count:     46
    .sgpr_spill_count: 0
    .symbol:         _ZN9rocsolver6v33100L23larf_right_kernel_smallILi256EflPfEEvT1_S3_T2_lS3_lPKT0_lS4_lS3_l.kd
    .uniform_work_group_size: 1
    .uses_dynamic_stack: false
    .vgpr_count:     22
    .vgpr_spill_count: 0
    .wavefront_size: 64
  - .agpr_count:     0
    .args:
      - .offset:         0
        .size:           8
        .value_kind:     by_value
      - .offset:         8
        .size:           8
        .value_kind:     by_value
      - .address_space:  global
        .offset:         16
        .size:           8
        .value_kind:     global_buffer
      - .offset:         24
        .size:           8
        .value_kind:     by_value
      - .offset:         32
        .size:           8
        .value_kind:     by_value
      - .offset:         40
        .size:           8
        .value_kind:     by_value
      - .address_space:  global
        .offset:         48
        .size:           8
        .value_kind:     global_buffer
      - .offset:         56
        .size:           8
        .value_kind:     by_value
      - .address_space:  global
        .offset:         64
        .size:           8
        .value_kind:     global_buffer
      - .offset:         72
        .size:           8
        .value_kind:     by_value
      - .offset:         80
        .size:           8
        .value_kind:     by_value
      - .offset:         88
        .size:           8
        .value_kind:     by_value
    .group_segment_fixed_size: 8224
    .kernarg_segment_align: 8
    .kernarg_segment_size: 96
    .language:       OpenCL C
    .language_version:
      - 2
      - 0
    .max_flat_workgroup_size: 512
    .name:           _ZN9rocsolver6v33100L23larf_right_kernel_smallILi512EflPfEEvT1_S3_T2_lS3_lPKT0_lS4_lS3_l
    .private_segment_fixed_size: 0
    .sgpr_count:     46
    .sgpr_spill_count: 0
    .symbol:         _ZN9rocsolver6v33100L23larf_right_kernel_smallILi512EflPfEEvT1_S3_T2_lS3_lPKT0_lS4_lS3_l.kd
    .uniform_work_group_size: 1
    .uses_dynamic_stack: false
    .vgpr_count:     26
    .vgpr_spill_count: 0
    .wavefront_size: 64
  - .agpr_count:     0
    .args:
      - .offset:         0
        .size:           8
        .value_kind:     by_value
      - .offset:         8
        .size:           8
        .value_kind:     by_value
      - .address_space:  global
        .offset:         16
        .size:           8
        .value_kind:     global_buffer
      - .offset:         24
        .size:           8
        .value_kind:     by_value
      - .offset:         32
        .size:           8
        .value_kind:     by_value
      - .offset:         40
        .size:           8
        .value_kind:     by_value
      - .address_space:  global
        .offset:         48
        .size:           8
        .value_kind:     global_buffer
      - .offset:         56
        .size:           8
        .value_kind:     by_value
      - .address_space:  global
        .offset:         64
        .size:           8
        .value_kind:     global_buffer
      - .offset:         72
        .size:           8
        .value_kind:     by_value
      - .offset:         80
        .size:           8
        .value_kind:     by_value
      - .offset:         88
        .size:           8
        .value_kind:     by_value
    .group_segment_fixed_size: 8256
    .kernarg_segment_align: 8
    .kernarg_segment_size: 96
    .language:       OpenCL C
    .language_version:
      - 2
      - 0
    .max_flat_workgroup_size: 1024
    .name:           _ZN9rocsolver6v33100L23larf_right_kernel_smallILi1024EflPfEEvT1_S3_T2_lS3_lPKT0_lS4_lS3_l
    .private_segment_fixed_size: 0
    .sgpr_count:     46
    .sgpr_spill_count: 0
    .symbol:         _ZN9rocsolver6v33100L23larf_right_kernel_smallILi1024EflPfEEvT1_S3_T2_lS3_lPKT0_lS4_lS3_l.kd
    .uniform_work_group_size: 1
    .uses_dynamic_stack: false
    .vgpr_count:     32
    .vgpr_spill_count: 0
    .wavefront_size: 64
  - .agpr_count:     0
    .args:
      - .offset:         0
        .size:           8
        .value_kind:     by_value
      - .offset:         8
        .size:           8
        .value_kind:     by_value
      - .address_space:  global
        .offset:         16
        .size:           8
        .value_kind:     global_buffer
      - .offset:         24
        .size:           8
        .value_kind:     by_value
      - .offset:         32
        .size:           8
        .value_kind:     by_value
      - .offset:         40
        .size:           8
        .value_kind:     by_value
      - .address_space:  global
        .offset:         48
        .size:           8
        .value_kind:     global_buffer
      - .offset:         56
        .size:           8
        .value_kind:     by_value
      - .address_space:  global
        .offset:         64
        .size:           8
        .value_kind:     global_buffer
      - .offset:         72
        .size:           8
        .value_kind:     by_value
      - .offset:         80
        .size:           8
        .value_kind:     by_value
      - .offset:         88
        .size:           8
        .value_kind:     by_value
    .group_segment_fixed_size: 8448
    .kernarg_segment_align: 8
    .kernarg_segment_size: 96
    .language:       OpenCL C
    .language_version:
      - 2
      - 0
    .max_flat_workgroup_size: 64
    .name:           _ZN9rocsolver6v33100L22larf_left_kernel_smallILi64EflPKPfEEvT1_S5_T2_lS5_lPKT0_lS6_lS5_l
    .private_segment_fixed_size: 0
    .sgpr_count:     52
    .sgpr_spill_count: 0
    .symbol:         _ZN9rocsolver6v33100L22larf_left_kernel_smallILi64EflPKPfEEvT1_S5_T2_lS5_lPKT0_lS6_lS5_l.kd
    .uniform_work_group_size: 1
    .uses_dynamic_stack: false
    .vgpr_count:     42
    .vgpr_spill_count: 0
    .wavefront_size: 64
  - .agpr_count:     0
    .args:
      - .offset:         0
        .size:           8
        .value_kind:     by_value
      - .offset:         8
        .size:           8
        .value_kind:     by_value
      - .address_space:  global
        .offset:         16
        .size:           8
        .value_kind:     global_buffer
      - .offset:         24
        .size:           8
        .value_kind:     by_value
      - .offset:         32
        .size:           8
        .value_kind:     by_value
      - .offset:         40
        .size:           8
        .value_kind:     by_value
      - .address_space:  global
        .offset:         48
        .size:           8
        .value_kind:     global_buffer
      - .offset:         56
        .size:           8
        .value_kind:     by_value
      - .address_space:  global
        .offset:         64
        .size:           8
        .value_kind:     global_buffer
      - .offset:         72
        .size:           8
        .value_kind:     by_value
      - .offset:         80
        .size:           8
        .value_kind:     by_value
      - .offset:         88
        .size:           8
        .value_kind:     by_value
    .group_segment_fixed_size: 8704
    .kernarg_segment_align: 8
    .kernarg_segment_size: 96
    .language:       OpenCL C
    .language_version:
      - 2
      - 0
    .max_flat_workgroup_size: 128
    .name:           _ZN9rocsolver6v33100L22larf_left_kernel_smallILi128EflPKPfEEvT1_S5_T2_lS5_lPKT0_lS6_lS5_l
    .private_segment_fixed_size: 0
    .sgpr_count:     56
    .sgpr_spill_count: 0
    .symbol:         _ZN9rocsolver6v33100L22larf_left_kernel_smallILi128EflPKPfEEvT1_S5_T2_lS5_lPKT0_lS6_lS5_l.kd
    .uniform_work_group_size: 1
    .uses_dynamic_stack: false
    .vgpr_count:     42
    .vgpr_spill_count: 0
    .wavefront_size: 64
  - .agpr_count:     0
    .args:
      - .offset:         0
        .size:           8
        .value_kind:     by_value
      - .offset:         8
        .size:           8
        .value_kind:     by_value
      - .address_space:  global
        .offset:         16
        .size:           8
        .value_kind:     global_buffer
      - .offset:         24
        .size:           8
        .value_kind:     by_value
      - .offset:         32
        .size:           8
        .value_kind:     by_value
      - .offset:         40
        .size:           8
        .value_kind:     by_value
      - .address_space:  global
        .offset:         48
        .size:           8
        .value_kind:     global_buffer
      - .offset:         56
        .size:           8
        .value_kind:     by_value
      - .address_space:  global
        .offset:         64
        .size:           8
        .value_kind:     global_buffer
      - .offset:         72
        .size:           8
        .value_kind:     by_value
      - .offset:         80
        .size:           8
        .value_kind:     by_value
      - .offset:         88
        .size:           8
        .value_kind:     by_value
    .group_segment_fixed_size: 9216
    .kernarg_segment_align: 8
    .kernarg_segment_size: 96
    .language:       OpenCL C
    .language_version:
      - 2
      - 0
    .max_flat_workgroup_size: 256
    .name:           _ZN9rocsolver6v33100L22larf_left_kernel_smallILi256EflPKPfEEvT1_S5_T2_lS5_lPKT0_lS6_lS5_l
    .private_segment_fixed_size: 0
    .sgpr_count:     56
    .sgpr_spill_count: 0
    .symbol:         _ZN9rocsolver6v33100L22larf_left_kernel_smallILi256EflPKPfEEvT1_S5_T2_lS5_lPKT0_lS6_lS5_l.kd
    .uniform_work_group_size: 1
    .uses_dynamic_stack: false
    .vgpr_count:     42
    .vgpr_spill_count: 0
    .wavefront_size: 64
  - .agpr_count:     0
    .args:
      - .offset:         0
        .size:           8
        .value_kind:     by_value
      - .offset:         8
        .size:           8
        .value_kind:     by_value
      - .address_space:  global
        .offset:         16
        .size:           8
        .value_kind:     global_buffer
      - .offset:         24
        .size:           8
        .value_kind:     by_value
      - .offset:         32
        .size:           8
        .value_kind:     by_value
      - .offset:         40
        .size:           8
        .value_kind:     by_value
      - .address_space:  global
        .offset:         48
        .size:           8
        .value_kind:     global_buffer
      - .offset:         56
        .size:           8
        .value_kind:     by_value
      - .address_space:  global
        .offset:         64
        .size:           8
        .value_kind:     global_buffer
      - .offset:         72
        .size:           8
        .value_kind:     by_value
      - .offset:         80
        .size:           8
        .value_kind:     by_value
      - .offset:         88
        .size:           8
        .value_kind:     by_value
    .group_segment_fixed_size: 10240
    .kernarg_segment_align: 8
    .kernarg_segment_size: 96
    .language:       OpenCL C
    .language_version:
      - 2
      - 0
    .max_flat_workgroup_size: 512
    .name:           _ZN9rocsolver6v33100L22larf_left_kernel_smallILi512EflPKPfEEvT1_S5_T2_lS5_lPKT0_lS6_lS5_l
    .private_segment_fixed_size: 0
    .sgpr_count:     56
    .sgpr_spill_count: 0
    .symbol:         _ZN9rocsolver6v33100L22larf_left_kernel_smallILi512EflPKPfEEvT1_S5_T2_lS5_lPKT0_lS6_lS5_l.kd
    .uniform_work_group_size: 1
    .uses_dynamic_stack: false
    .vgpr_count:     44
    .vgpr_spill_count: 0
    .wavefront_size: 64
  - .agpr_count:     0
    .args:
      - .offset:         0
        .size:           8
        .value_kind:     by_value
      - .offset:         8
        .size:           8
        .value_kind:     by_value
      - .address_space:  global
        .offset:         16
        .size:           8
        .value_kind:     global_buffer
      - .offset:         24
        .size:           8
        .value_kind:     by_value
      - .offset:         32
        .size:           8
        .value_kind:     by_value
      - .offset:         40
        .size:           8
        .value_kind:     by_value
      - .address_space:  global
        .offset:         48
        .size:           8
        .value_kind:     global_buffer
      - .offset:         56
        .size:           8
        .value_kind:     by_value
      - .address_space:  global
        .offset:         64
        .size:           8
        .value_kind:     global_buffer
      - .offset:         72
        .size:           8
        .value_kind:     by_value
      - .offset:         80
        .size:           8
        .value_kind:     by_value
      - .offset:         88
        .size:           8
        .value_kind:     by_value
    .group_segment_fixed_size: 12288
    .kernarg_segment_align: 8
    .kernarg_segment_size: 96
    .language:       OpenCL C
    .language_version:
      - 2
      - 0
    .max_flat_workgroup_size: 1024
    .name:           _ZN9rocsolver6v33100L22larf_left_kernel_smallILi1024EflPKPfEEvT1_S5_T2_lS5_lPKT0_lS6_lS5_l
    .private_segment_fixed_size: 0
    .sgpr_count:     56
    .sgpr_spill_count: 0
    .symbol:         _ZN9rocsolver6v33100L22larf_left_kernel_smallILi1024EflPKPfEEvT1_S5_T2_lS5_lPKT0_lS6_lS5_l.kd
    .uniform_work_group_size: 1
    .uses_dynamic_stack: false
    .vgpr_count:     48
    .vgpr_spill_count: 0
    .wavefront_size: 64
  - .agpr_count:     0
    .args:
      - .offset:         0
        .size:           8
        .value_kind:     by_value
      - .offset:         8
        .size:           8
        .value_kind:     by_value
      - .address_space:  global
        .offset:         16
        .size:           8
        .value_kind:     global_buffer
      - .offset:         24
        .size:           8
        .value_kind:     by_value
      - .offset:         32
        .size:           8
        .value_kind:     by_value
      - .offset:         40
        .size:           8
        .value_kind:     by_value
      - .address_space:  global
        .offset:         48
        .size:           8
        .value_kind:     global_buffer
      - .offset:         56
        .size:           8
        .value_kind:     by_value
      - .address_space:  global
        .offset:         64
        .size:           8
        .value_kind:     global_buffer
      - .offset:         72
        .size:           8
        .value_kind:     by_value
      - .offset:         80
        .size:           8
        .value_kind:     by_value
      - .offset:         88
        .size:           8
        .value_kind:     by_value
    .group_segment_fixed_size: 8196
    .kernarg_segment_align: 8
    .kernarg_segment_size: 96
    .language:       OpenCL C
    .language_version:
      - 2
      - 0
    .max_flat_workgroup_size: 64
    .name:           _ZN9rocsolver6v33100L23larf_right_kernel_smallILi64EflPKPfEEvT1_S5_T2_lS5_lPKT0_lS6_lS5_l
    .private_segment_fixed_size: 0
    .sgpr_count:     48
    .sgpr_spill_count: 0
    .symbol:         _ZN9rocsolver6v33100L23larf_right_kernel_smallILi64EflPKPfEEvT1_S5_T2_lS5_lPKT0_lS6_lS5_l.kd
    .uniform_work_group_size: 1
    .uses_dynamic_stack: false
    .vgpr_count:     21
    .vgpr_spill_count: 0
    .wavefront_size: 64
  - .agpr_count:     0
    .args:
      - .offset:         0
        .size:           8
        .value_kind:     by_value
      - .offset:         8
        .size:           8
        .value_kind:     by_value
      - .address_space:  global
        .offset:         16
        .size:           8
        .value_kind:     global_buffer
      - .offset:         24
        .size:           8
        .value_kind:     by_value
      - .offset:         32
        .size:           8
        .value_kind:     by_value
      - .offset:         40
        .size:           8
        .value_kind:     by_value
      - .address_space:  global
        .offset:         48
        .size:           8
        .value_kind:     global_buffer
      - .offset:         56
        .size:           8
        .value_kind:     by_value
      - .address_space:  global
        .offset:         64
        .size:           8
        .value_kind:     global_buffer
      - .offset:         72
        .size:           8
        .value_kind:     by_value
      - .offset:         80
        .size:           8
        .value_kind:     by_value
      - .offset:         88
        .size:           8
        .value_kind:     by_value
    .group_segment_fixed_size: 8200
    .kernarg_segment_align: 8
    .kernarg_segment_size: 96
    .language:       OpenCL C
    .language_version:
      - 2
      - 0
    .max_flat_workgroup_size: 128
    .name:           _ZN9rocsolver6v33100L23larf_right_kernel_smallILi128EflPKPfEEvT1_S5_T2_lS5_lPKT0_lS6_lS5_l
    .private_segment_fixed_size: 0
    .sgpr_count:     48
    .sgpr_spill_count: 0
    .symbol:         _ZN9rocsolver6v33100L23larf_right_kernel_smallILi128EflPKPfEEvT1_S5_T2_lS5_lPKT0_lS6_lS5_l.kd
    .uniform_work_group_size: 1
    .uses_dynamic_stack: false
    .vgpr_count:     21
    .vgpr_spill_count: 0
    .wavefront_size: 64
  - .agpr_count:     0
    .args:
      - .offset:         0
        .size:           8
        .value_kind:     by_value
      - .offset:         8
        .size:           8
        .value_kind:     by_value
      - .address_space:  global
        .offset:         16
        .size:           8
        .value_kind:     global_buffer
      - .offset:         24
        .size:           8
        .value_kind:     by_value
      - .offset:         32
        .size:           8
        .value_kind:     by_value
      - .offset:         40
        .size:           8
        .value_kind:     by_value
      - .address_space:  global
        .offset:         48
        .size:           8
        .value_kind:     global_buffer
      - .offset:         56
        .size:           8
        .value_kind:     by_value
      - .address_space:  global
        .offset:         64
        .size:           8
        .value_kind:     global_buffer
      - .offset:         72
        .size:           8
        .value_kind:     by_value
      - .offset:         80
        .size:           8
        .value_kind:     by_value
      - .offset:         88
        .size:           8
        .value_kind:     by_value
    .group_segment_fixed_size: 8208
    .kernarg_segment_align: 8
    .kernarg_segment_size: 96
    .language:       OpenCL C
    .language_version:
      - 2
      - 0
    .max_flat_workgroup_size: 256
    .name:           _ZN9rocsolver6v33100L23larf_right_kernel_smallILi256EflPKPfEEvT1_S5_T2_lS5_lPKT0_lS6_lS5_l
    .private_segment_fixed_size: 0
    .sgpr_count:     48
    .sgpr_spill_count: 0
    .symbol:         _ZN9rocsolver6v33100L23larf_right_kernel_smallILi256EflPKPfEEvT1_S5_T2_lS5_lPKT0_lS6_lS5_l.kd
    .uniform_work_group_size: 1
    .uses_dynamic_stack: false
    .vgpr_count:     22
    .vgpr_spill_count: 0
    .wavefront_size: 64
  - .agpr_count:     0
    .args:
      - .offset:         0
        .size:           8
        .value_kind:     by_value
      - .offset:         8
        .size:           8
        .value_kind:     by_value
      - .address_space:  global
        .offset:         16
        .size:           8
        .value_kind:     global_buffer
      - .offset:         24
        .size:           8
        .value_kind:     by_value
      - .offset:         32
        .size:           8
        .value_kind:     by_value
      - .offset:         40
        .size:           8
        .value_kind:     by_value
      - .address_space:  global
        .offset:         48
        .size:           8
        .value_kind:     global_buffer
      - .offset:         56
        .size:           8
        .value_kind:     by_value
      - .address_space:  global
        .offset:         64
        .size:           8
        .value_kind:     global_buffer
      - .offset:         72
        .size:           8
        .value_kind:     by_value
      - .offset:         80
        .size:           8
        .value_kind:     by_value
      - .offset:         88
        .size:           8
        .value_kind:     by_value
    .group_segment_fixed_size: 8224
    .kernarg_segment_align: 8
    .kernarg_segment_size: 96
    .language:       OpenCL C
    .language_version:
      - 2
      - 0
    .max_flat_workgroup_size: 512
    .name:           _ZN9rocsolver6v33100L23larf_right_kernel_smallILi512EflPKPfEEvT1_S5_T2_lS5_lPKT0_lS6_lS5_l
    .private_segment_fixed_size: 0
    .sgpr_count:     48
    .sgpr_spill_count: 0
    .symbol:         _ZN9rocsolver6v33100L23larf_right_kernel_smallILi512EflPKPfEEvT1_S5_T2_lS5_lPKT0_lS6_lS5_l.kd
    .uniform_work_group_size: 1
    .uses_dynamic_stack: false
    .vgpr_count:     26
    .vgpr_spill_count: 0
    .wavefront_size: 64
  - .agpr_count:     0
    .args:
      - .offset:         0
        .size:           8
        .value_kind:     by_value
      - .offset:         8
        .size:           8
        .value_kind:     by_value
      - .address_space:  global
        .offset:         16
        .size:           8
        .value_kind:     global_buffer
      - .offset:         24
        .size:           8
        .value_kind:     by_value
      - .offset:         32
        .size:           8
        .value_kind:     by_value
      - .offset:         40
        .size:           8
        .value_kind:     by_value
      - .address_space:  global
        .offset:         48
        .size:           8
        .value_kind:     global_buffer
      - .offset:         56
        .size:           8
        .value_kind:     by_value
      - .address_space:  global
        .offset:         64
        .size:           8
        .value_kind:     global_buffer
      - .offset:         72
        .size:           8
        .value_kind:     by_value
      - .offset:         80
        .size:           8
        .value_kind:     by_value
      - .offset:         88
        .size:           8
        .value_kind:     by_value
    .group_segment_fixed_size: 8256
    .kernarg_segment_align: 8
    .kernarg_segment_size: 96
    .language:       OpenCL C
    .language_version:
      - 2
      - 0
    .max_flat_workgroup_size: 1024
    .name:           _ZN9rocsolver6v33100L23larf_right_kernel_smallILi1024EflPKPfEEvT1_S5_T2_lS5_lPKT0_lS6_lS5_l
    .private_segment_fixed_size: 0
    .sgpr_count:     48
    .sgpr_spill_count: 0
    .symbol:         _ZN9rocsolver6v33100L23larf_right_kernel_smallILi1024EflPKPfEEvT1_S5_T2_lS5_lPKT0_lS6_lS5_l.kd
    .uniform_work_group_size: 1
    .uses_dynamic_stack: false
    .vgpr_count:     32
    .vgpr_spill_count: 0
    .wavefront_size: 64
amdhsa.target:   amdgcn-amd-amdhsa--gfx950
amdhsa.version:
  - 1
  - 2
...

	.end_amdgpu_metadata
